;; amdgpu-corpus repo=ROCm/rocFFT kind=compiled arch=gfx950 opt=O3
	.text
	.amdgcn_target "amdgcn-amd-amdhsa--gfx950"
	.amdhsa_code_object_version 6
	.protected	bluestein_single_fwd_len238_dim1_sp_op_CI_CI ; -- Begin function bluestein_single_fwd_len238_dim1_sp_op_CI_CI
	.globl	bluestein_single_fwd_len238_dim1_sp_op_CI_CI
	.p2align	8
	.type	bluestein_single_fwd_len238_dim1_sp_op_CI_CI,@function
bluestein_single_fwd_len238_dim1_sp_op_CI_CI: ; @bluestein_single_fwd_len238_dim1_sp_op_CI_CI
; %bb.0:
	s_load_dwordx4 s[8:11], s[0:1], 0x28
	v_mul_u32_u24_e32 v1, 0xf10, v0
	v_lshrrev_b32_e32 v2, 16, v1
	v_mad_u64_u32 v[186:187], s[2:3], s2, 3, v[2:3]
	v_mov_b32_e32 v187, 0
	s_waitcnt lgkmcnt(0)
	v_cmp_gt_u64_e32 vcc, s[8:9], v[186:187]
	s_and_saveexec_b64 s[2:3], vcc
	s_cbranch_execz .LBB0_15
; %bb.1:
	v_mul_lo_u16_e32 v1, 17, v2
	s_mov_b32 s2, 0xaaaaaaab
	v_sub_u16_e32 v177, v0, v1
	v_mul_hi_u32 v0, v186, s2
	s_load_dwordx2 s[8:9], s[0:1], 0x0
	s_load_dwordx2 s[12:13], s[0:1], 0x38
	v_lshrrev_b32_e32 v0, 1, v0
	v_lshl_add_u32 v0, v0, 1, v0
	v_sub_u32_e32 v0, v186, v0
	v_mul_u32_u24_e32 v185, 0xee, v0
	v_cmp_gt_u16_e32 vcc, 14, v177
	v_lshlrev_b32_e32 v184, 3, v177
	v_lshlrev_b32_e32 v176, 3, v185
	s_and_saveexec_b64 s[2:3], vcc
	s_cbranch_execz .LBB0_3
; %bb.2:
	s_load_dwordx2 s[4:5], s[0:1], 0x18
	v_mov_b32_e32 v0, s10
	v_mov_b32_e32 v1, s11
	;; [unrolled: 1-line block ×3, first 2 shown]
	v_or_b32_e32 v29, 0x70, v177
	s_waitcnt lgkmcnt(0)
	s_load_dwordx4 s[4:7], s[4:5], 0x0
	v_mov_b32_e32 v42, 0xe0
	v_or_b32_e32 v31, 0xe0, v177
	s_waitcnt lgkmcnt(0)
	v_mad_u64_u32 v[2:3], s[10:11], s6, v186, 0
	v_mad_u64_u32 v[4:5], s[10:11], s4, v177, 0
	v_mov_b32_e32 v6, v3
	v_mov_b32_e32 v8, v5
	v_mad_u64_u32 v[6:7], s[6:7], s7, v186, v[6:7]
	v_mov_b32_e32 v3, v6
	v_mad_u64_u32 v[6:7], s[6:7], s5, v177, v[8:9]
	v_mov_b32_e32 v5, v6
	v_lshl_add_u64 v[2:3], v[2:3], 3, v[0:1]
	v_lshl_add_u64 v[4:5], v[4:5], 3, v[2:3]
	v_mad_u64_u32 v[16:17], s[6:7], s4, v44, v[4:5]
	s_mul_i32 s6, s5, 0x70
	s_nop 0
	v_add_u32_e32 v17, s6, v17
	v_mad_u64_u32 v[18:19], s[10:11], s4, v44, v[16:17]
	v_add_u32_e32 v19, s6, v19
	v_mad_u64_u32 v[24:25], s[10:11], s4, v29, 0
	global_load_dwordx2 v[0:1], v[4:5], off
	global_load_dwordx2 v[8:9], v184, s[8:9]
	s_nop 0
	global_load_dwordx2 v[4:5], v184, s[8:9] offset:112
	global_load_dwordx2 v[6:7], v184, s[8:9] offset:224
	;; [unrolled: 1-line block ×7, first 2 shown]
	v_mov_b32_e32 v28, v25
	global_load_dwordx2 v[16:17], v[16:17], off
	v_mad_u64_u32 v[28:29], s[10:11], s5, v29, v[28:29]
	global_load_dwordx2 v[32:33], v[18:19], off
	v_mad_u64_u32 v[18:19], s[10:11], s4, v44, v[18:19]
	v_add_u32_e32 v19, s6, v19
	v_mov_b32_e32 v25, v28
	global_load_dwordx2 v[28:29], v[18:19], off
	v_mad_u64_u32 v[18:19], s[10:11], s4, v44, v[18:19]
	v_add_u32_e32 v19, s6, v19
	global_load_dwordx2 v[34:35], v[18:19], off
	v_mad_u64_u32 v[18:19], s[10:11], s4, v44, v[18:19]
	v_add_u32_e32 v19, s6, v19
	;; [unrolled: 3-line block ×3, first 2 shown]
	v_lshl_add_u64 v[24:25], v[24:25], 3, v[2:3]
	global_load_dwordx2 v[38:39], v[18:19], off
	global_load_dwordx2 v[40:41], v[24:25], off
	v_mad_u64_u32 v[18:19], s[10:11], s4, v44, v[18:19]
	v_add_u32_e32 v19, s6, v19
	s_mul_i32 s7, s5, 0xe0
	global_load_dwordx2 v[24:25], v[18:19], off
	v_mad_u64_u32 v[18:19], s[10:11], s4, v42, v[18:19]
	v_add_u32_e32 v19, s7, v19
	global_load_dwordx2 v[42:43], v184, s[8:9] offset:896
	global_load_dwordx2 v[46:47], v[18:19], off
	v_mad_u64_u32 v[18:19], s[10:11], s4, v44, v[18:19]
	v_add_u32_e32 v19, s6, v19
	global_load_dwordx2 v[48:49], v184, s[8:9] offset:1008
	;; [unrolled: 4-line block ×3, first 2 shown]
	global_load_dwordx2 v[54:55], v[18:19], off
	global_load_dwordx2 v[56:57], v184, s[8:9] offset:1232
	v_mad_u64_u32 v[18:19], s[10:11], s4, v44, v[18:19]
	v_add_u32_e32 v19, s6, v19
	global_load_dwordx2 v[58:59], v[18:19], off
	global_load_dwordx2 v[60:61], v184, s[8:9] offset:1344
	v_mad_u64_u32 v[18:19], s[10:11], s4, v44, v[18:19]
	v_mad_u64_u32 v[26:27], s[10:11], s4, v31, 0
	v_add_u32_e32 v19, s6, v19
	v_mov_b32_e32 v30, v27
	global_load_dwordx2 v[62:63], v[18:19], off
	global_load_dwordx2 v[64:65], v184, s[8:9] offset:1456
	v_mad_u64_u32 v[18:19], s[10:11], s4, v44, v[18:19]
	v_mad_u64_u32 v[30:31], s[10:11], s5, v31, v[30:31]
	v_add_u32_e32 v19, s6, v19
	global_load_dwordx2 v[66:67], v[18:19], off
	global_load_dwordx2 v[68:69], v184, s[8:9] offset:1568
	v_mad_u64_u32 v[18:19], s[4:5], s4, v44, v[18:19]
	v_mov_b32_e32 v27, v30
	v_add_u32_e32 v19, s6, v19
	v_lshl_add_u64 v[2:3], v[26:27], 3, v[2:3]
	global_load_dwordx2 v[70:71], v[18:19], off
	global_load_dwordx2 v[72:73], v184, s[8:9] offset:1680
	s_nop 0
	global_load_dwordx2 v[18:19], v[2:3], off
	global_load_dwordx2 v[26:27], v184, s[8:9] offset:1792
	s_waitcnt vmcnt(32)
	v_mul_f32_e32 v2, v1, v9
	v_mul_f32_e32 v3, v0, v9
	v_fmac_f32_e32 v2, v0, v8
	v_fma_f32 v3, v1, v8, -v3
	s_waitcnt vmcnt(24)
	v_mul_f32_e32 v0, v17, v5
	v_mul_f32_e32 v1, v16, v5
	v_fmac_f32_e32 v0, v16, v4
	v_fma_f32 v1, v17, v4, -v1
	;; [unrolled: 5-line block ×3, first 2 shown]
	v_lshl_add_u32 v6, v177, 3, v176
	ds_write_b64 v6, v[2:3]
	v_add_u32_e32 v6, v176, v184
	ds_write2_b64 v6, v[0:1], v[4:5] offset0:14 offset1:28
	s_waitcnt vmcnt(22)
	v_mul_f32_e32 v0, v29, v11
	v_mul_f32_e32 v1, v28, v11
	s_waitcnt vmcnt(21)
	v_mul_f32_e32 v2, v35, v13
	v_mul_f32_e32 v3, v34, v13
	v_fmac_f32_e32 v0, v28, v10
	v_fma_f32 v1, v29, v10, -v1
	v_fmac_f32_e32 v2, v34, v12
	v_fma_f32 v3, v35, v12, -v3
	ds_write2_b64 v6, v[0:1], v[2:3] offset0:42 offset1:56
	s_waitcnt vmcnt(20)
	v_mul_f32_e32 v0, v37, v15
	v_mul_f32_e32 v1, v36, v15
	s_waitcnt vmcnt(19)
	v_mul_f32_e32 v2, v39, v21
	v_mul_f32_e32 v3, v38, v21
	v_fmac_f32_e32 v0, v36, v14
	v_fma_f32 v1, v37, v14, -v1
	v_fmac_f32_e32 v2, v38, v20
	v_fma_f32 v3, v39, v20, -v3
	;; [unrolled: 11-line block ×7, first 2 shown]
	ds_write2_b64 v6, v[0:1], v[2:3] offset0:210 offset1:224
.LBB0_3:
	s_or_b64 exec, exec, s[2:3]
	s_load_dwordx2 s[2:3], s[0:1], 0x20
	s_load_dwordx2 s[4:5], s[0:1], 0x8
	v_mov_b32_e32 v0, 0
	v_mov_b32_e32 v1, 0
	s_waitcnt lgkmcnt(0)
	; wave barrier
	s_waitcnt lgkmcnt(0)
                                        ; implicit-def: $vgpr22
                                        ; implicit-def: $vgpr4
                                        ; implicit-def: $vgpr26
                                        ; implicit-def: $vgpr8
                                        ; implicit-def: $vgpr30
                                        ; implicit-def: $vgpr56
                                        ; implicit-def: $vgpr18
                                        ; implicit-def: $vgpr34
	s_and_saveexec_b64 s[0:1], vcc
	s_cbranch_execz .LBB0_5
; %bb.4:
	v_lshl_add_u32 v12, v185, 3, v184
	ds_read2_b64 v[0:3], v12 offset1:14
	ds_read2_b64 v[32:35], v12 offset0:28 offset1:42
	ds_read2_b64 v[28:31], v12 offset0:56 offset1:70
	;; [unrolled: 1-line block ×7, first 2 shown]
	ds_read_b64 v[56:57], v12 offset:1792
.LBB0_5:
	s_or_b64 exec, exec, s[0:1]
	s_mov_b32 s22, 0xbf2c7751
	s_waitcnt lgkmcnt(0)
	v_pk_add_f32 v[40:41], v[56:57], v[2:3]
	v_pk_add_f32 v[12:13], v[2:3], v[56:57] neg_lo:[0,1] neg_hi:[0,1]
	s_mov_b32 s23, 0x3f3d2fb0
	v_mov_b32_e32 v37, v41
	v_mov_b32_e32 v41, v12
	s_mov_b32 s0, s23
	s_mov_b32 s1, s22
	v_pk_mul_f32 v[66:67], v[40:41], s[0:1]
	s_mov_b32 s0, 0xbf7ee86f
	s_mov_b32 s42, 0xbf65296c
	v_pk_add_f32 v[58:59], v[18:19], v[32:33]
	v_pk_add_f32 v[68:69], v[32:33], v[18:19] neg_lo:[0,1] neg_hi:[0,1]
	s_mov_b32 s1, 0x3dbcf732
	s_mov_b32 s43, 0x3ee437d1
	v_mov_b32_e32 v36, v13
	v_mov_b32_e32 v42, v58
	;; [unrolled: 1-line block ×3, first 2 shown]
	s_mov_b32 s44, s1
	s_mov_b32 s45, s0
	;; [unrolled: 1-line block ×4, first 2 shown]
	v_pk_fma_f32 v[64:65], v[36:37], s[22:23], v[66:67]
	v_pk_fma_f32 v[12:13], v[36:37], s[22:23], v[66:67] neg_lo:[0,0,1] neg_hi:[0,0,1]
	v_mov_b32_e32 v38, v69
	v_mov_b32_e32 v39, v59
	v_pk_mul_f32 v[72:73], v[42:43], s[44:45]
	v_pk_mul_f32 v[90:91], v[40:41], s[6:7]
	s_mov_b32 s6, 0xbf4c4adb
	v_pk_fma_f32 v[70:71], v[38:39], s[0:1], v[72:73]
	v_pk_fma_f32 v[14:15], v[38:39], s[0:1], v[72:73] neg_lo:[0,0,1] neg_hi:[0,0,1]
	s_mov_b32 s7, 0xbf1a4643
	v_mov_b32_e32 v12, v64
	s_mov_b32 s46, s7
	s_mov_b32 s47, s6
	v_pk_add_f32 v[12:13], v[12:13], v[0:1]
	v_mov_b32_e32 v14, v70
	v_pk_mul_f32 v[92:93], v[42:43], s[46:47]
	v_pk_fma_f32 v[106:107], v[36:37], s[42:43], v[90:91]
	v_pk_add_f32 v[12:13], v[14:15], v[12:13]
	v_pk_fma_f32 v[14:15], v[36:37], s[42:43], v[90:91] neg_lo:[0,0,1] neg_hi:[0,0,1]
	v_pk_fma_f32 v[88:89], v[38:39], s[6:7], v[92:93]
	v_mov_b32_e32 v14, v106
	v_pk_fma_f32 v[46:47], v[38:39], s[6:7], v[92:93] neg_lo:[0,0,1] neg_hi:[0,0,1]
	v_pk_add_f32 v[14:15], v[14:15], v[0:1]
	v_mov_b32_e32 v46, v88
	v_pk_add_f32 v[48:49], v[34:35], v[16:17] neg_lo:[0,1] neg_hi:[0,1]
	v_pk_add_f32 v[14:15], v[46:47], v[14:15]
	s_mov_b32 s18, s7
	v_pk_add_f32 v[46:47], v[16:17], v[34:35]
	v_pk_mul_f32 v[50:51], v[48:49], s[6:7] op_sel_hi:[1,0]
	s_mov_b32 s10, 0x3e3c28d5
	v_pk_fma_f32 v[84:85], v[46:47], s[18:19], v[50:51] op_sel:[0,0,1] op_sel_hi:[1,0,0]
	v_pk_fma_f32 v[86:87], v[46:47], s[18:19], v[50:51] op_sel:[0,0,1] op_sel_hi:[1,0,0] neg_lo:[0,0,1] neg_hi:[0,0,1]
	v_mov_b32_e32 v50, v84
	v_mov_b32_e32 v51, v87
	v_pk_add_f32 v[12:13], v[50:51], v[12:13]
	s_mov_b32 s24, 0xbf7ba420
	v_pk_mul_f32 v[50:51], v[48:49], s[10:11] op_sel_hi:[1,0]
	s_mov_b32 s10, 0xbe3c28d5
	v_pk_fma_f32 v[120:121], v[46:47], s[24:25], v[50:51] op_sel:[0,0,1] op_sel_hi:[1,0,0]
	v_pk_fma_f32 v[82:83], v[46:47], s[24:25], v[50:51] op_sel:[0,0,1] op_sel_hi:[1,0,0] neg_lo:[0,0,1] neg_hi:[0,0,1]
	v_mov_b32_e32 v50, v120
	v_mov_b32_e32 v51, v83
	v_pk_add_f32 v[74:75], v[28:29], v[10:11] neg_lo:[0,1] neg_hi:[0,1]
	v_pk_add_f32 v[14:15], v[50:51], v[14:15]
	v_pk_add_f32 v[50:51], v[10:11], v[28:29]
	v_pk_mul_f32 v[52:53], v[74:75], s[10:11] op_sel:[1,0] op_sel_hi:[0,0]
	v_pk_fma_f32 v[98:99], v[50:51], s[24:25], v[52:53] op_sel_hi:[1,0,1]
	v_pk_fma_f32 v[100:101], v[50:51], s[24:25], v[52:53] op_sel_hi:[1,0,1] neg_lo:[0,0,1] neg_hi:[0,0,1]
	v_mov_b32_e32 v52, v98
	v_mov_b32_e32 v53, v101
	s_mov_b32 s16, 0x3f763a35
	v_pk_add_f32 v[12:13], v[52:53], v[12:13]
	s_mov_b32 s20, 0xbe8c1d8e
	v_pk_mul_f32 v[52:53], v[74:75], s[16:17] op_sel:[1,0] op_sel_hi:[0,0]
	v_pk_fma_f32 v[94:95], v[50:51], s[20:21], v[52:53] op_sel_hi:[1,0,1]
	v_pk_fma_f32 v[96:97], v[50:51], s[20:21], v[52:53] op_sel_hi:[1,0,1] neg_lo:[0,0,1] neg_hi:[0,0,1]
	v_mov_b32_e32 v52, v94
	v_mov_b32_e32 v53, v97
	s_mov_b32 s14, 0x3f06c442
	v_pk_add_f32 v[76:77], v[30:31], v[8:9] neg_lo:[0,1] neg_hi:[0,1]
	v_pk_add_f32 v[14:15], v[52:53], v[14:15]
	s_mov_b32 s30, 0xbf59a7d5
	v_pk_add_f32 v[52:53], v[8:9], v[30:31]
	v_pk_mul_f32 v[54:55], v[76:77], s[14:15] op_sel:[1,0] op_sel_hi:[0,0]
	v_pk_fma_f32 v[108:109], v[52:53], s[30:31], v[54:55] op_sel_hi:[1,0,1]
	v_pk_fma_f32 v[110:111], v[52:53], s[30:31], v[54:55] op_sel_hi:[1,0,1] neg_lo:[0,0,1] neg_hi:[0,0,1]
	v_mov_b32_e32 v54, v108
	v_mov_b32_e32 v55, v111
	s_mov_b32 s36, 0x3f2c7751
	v_pk_add_f32 v[12:13], v[54:55], v[12:13]
	s_mov_b32 s28, s23
	v_pk_mul_f32 v[54:55], v[76:77], s[36:37] op_sel:[1,0] op_sel_hi:[0,0]
	v_pk_fma_f32 v[102:103], v[52:53], s[28:29], v[54:55] op_sel_hi:[1,0,1]
	v_pk_fma_f32 v[104:105], v[52:53], s[28:29], v[54:55] op_sel_hi:[1,0,1] neg_lo:[0,0,1] neg_hi:[0,0,1]
	v_mov_b32_e32 v54, v102
	v_mov_b32_e32 v55, v105
	v_pk_add_f32 v[138:139], v[24:25], v[6:7] neg_lo:[0,1] neg_hi:[0,1]
	v_pk_add_f32 v[14:15], v[54:55], v[14:15]
	v_pk_add_f32 v[54:55], v[6:7], v[24:25]
	v_pk_mul_f32 v[60:61], v[138:139], s[16:17] op_sel:[1,0] op_sel_hi:[0,0]
	v_pk_fma_f32 v[116:117], v[54:55], s[20:21], v[60:61] op_sel_hi:[1,0,1]
	v_pk_fma_f32 v[118:119], v[54:55], s[20:21], v[60:61] op_sel_hi:[1,0,1] neg_lo:[0,0,1] neg_hi:[0,0,1]
	s_mov_b32 s40, 0xbeb8f4ab
	v_mov_b32_e32 v60, v116
	v_mov_b32_e32 v61, v119
	s_mov_b32 s41, 0x3f6eb680
	v_pk_add_f32 v[12:13], v[60:61], v[12:13]
	s_mov_b32 s48, s41
	v_pk_mul_f32 v[60:61], v[138:139], s[40:41] op_sel:[1,0] op_sel_hi:[0,0]
	v_pk_fma_f32 v[112:113], v[54:55], s[48:49], v[60:61] op_sel_hi:[1,0,1]
	v_pk_fma_f32 v[114:115], v[54:55], s[48:49], v[60:61] op_sel_hi:[1,0,1] neg_lo:[0,0,1] neg_hi:[0,0,1]
	v_mov_b32_e32 v60, v112
	v_mov_b32_e32 v61, v115
	s_mov_b32 s26, 0x3f65296c
	v_pk_add_f32 v[150:151], v[26:27], v[4:5] neg_lo:[0,1] neg_hi:[0,1]
	v_pk_add_f32 v[14:15], v[60:61], v[14:15]
	s_mov_b32 s50, s43
	v_pk_add_f32 v[60:61], v[4:5], v[26:27]
	v_pk_mul_f32 v[62:63], v[150:151], s[26:27] op_sel:[1,0] op_sel_hi:[0,0]
	v_pk_fma_f32 v[126:127], v[60:61], s[50:51], v[62:63] op_sel_hi:[1,0,1]
	v_pk_fma_f32 v[128:129], v[60:61], s[50:51], v[62:63] op_sel_hi:[1,0,1] neg_lo:[0,0,1] neg_hi:[0,0,1]
	v_mov_b32_e32 v62, v126
	v_mov_b32_e32 v63, v129
	v_pk_add_f32 v[12:13], v[62:63], v[12:13]
	s_mov_b32 s52, s1
	v_pk_mul_f32 v[62:63], v[150:151], s[0:1] op_sel:[1,0] op_sel_hi:[0,0]
	v_pk_fma_f32 v[122:123], v[60:61], s[52:53], v[62:63] op_sel_hi:[1,0,1]
	v_pk_fma_f32 v[124:125], v[60:61], s[52:53], v[62:63] op_sel_hi:[1,0,1] neg_lo:[0,0,1] neg_hi:[0,0,1]
	v_mov_b32_e32 v62, v122
	v_mov_b32_e32 v63, v125
	s_mov_b32 s38, 0x3eb8f4ab
	v_pk_add_f32 v[174:175], v[20:21], v[22:23] neg_lo:[0,1] neg_hi:[0,1]
	v_pk_add_f32 v[78:79], v[62:63], v[14:15]
	v_pk_add_f32 v[62:63], v[22:23], v[20:21]
	v_pk_mul_f32 v[14:15], v[174:175], s[38:39] op_sel:[1,0] op_sel_hi:[0,0]
	v_pk_fma_f32 v[134:135], v[62:63], s[48:49], v[14:15] op_sel_hi:[1,0,1]
	v_pk_fma_f32 v[136:137], v[62:63], s[48:49], v[14:15] op_sel_hi:[1,0,1] neg_lo:[0,0,1] neg_hi:[0,0,1]
	s_mov_b32 s34, 0xbf06c442
	v_mov_b32_e32 v14, v134
	v_mov_b32_e32 v15, v137
	v_pk_add_f32 v[14:15], v[14:15], v[12:13]
	v_pk_mul_f32 v[12:13], v[174:175], s[34:35] op_sel:[1,0] op_sel_hi:[0,0]
	v_pk_fma_f32 v[130:131], v[62:63], s[30:31], v[12:13] op_sel_hi:[1,0,1]
	v_pk_fma_f32 v[132:133], v[62:63], s[30:31], v[12:13] op_sel_hi:[1,0,1] neg_lo:[0,0,1] neg_hi:[0,0,1]
	v_mov_b32_e32 v12, v130
	v_mov_b32_e32 v13, v133
	v_pk_add_f32 v[12:13], v[12:13], v[78:79]
	v_pk_mul_f32 v[78:79], v[68:69], s[22:23] op_sel:[1,0] op_sel_hi:[0,0]
	v_pk_fma_f32 v[140:141], v[58:59], s[28:29], v[78:79] op_sel_hi:[1,0,1]
	v_pk_fma_f32 v[142:143], v[58:59], s[28:29], v[78:79] op_sel_hi:[1,0,1] neg_lo:[0,0,1] neg_hi:[0,0,1]
	s_mov_b32 s28, s41
	s_mov_b32 s29, s40
	v_pk_mul_f32 v[160:161], v[40:41], s[28:29]
	v_mov_b32_e32 v78, v140
	v_pk_fma_f32 v[158:159], v[36:37], s[40:41], v[160:161]
	v_pk_fma_f32 v[58:59], v[36:37], s[40:41], v[160:161] neg_lo:[0,0,1] neg_hi:[0,0,1]
	v_mov_b32_e32 v79, v143
	v_mov_b32_e32 v58, v158
	v_pk_add_f32 v[58:59], v[58:59], v[0:1]
	s_mov_b32 s28, 0xbf763a35
	v_pk_add_f32 v[58:59], v[78:79], v[58:59]
	v_pk_mul_f32 v[78:79], v[48:49], s[42:43] op_sel_hi:[1,0]
	v_mul_lo_u16_e32 v116, 17, v177
	v_pk_fma_f32 v[144:145], v[46:47], s[50:51], v[78:79] op_sel:[0,0,1] op_sel_hi:[1,0,0]
	v_pk_fma_f32 v[146:147], v[46:47], s[50:51], v[78:79] op_sel:[0,0,1] op_sel_hi:[1,0,0] neg_lo:[0,0,1] neg_hi:[0,0,1]
	v_mov_b32_e32 v78, v144
	v_mov_b32_e32 v79, v147
	v_pk_add_f32 v[58:59], v[78:79], v[58:59]
	v_pk_mul_f32 v[78:79], v[74:75], s[0:1] op_sel:[1,0] op_sel_hi:[0,0]
	v_pk_fma_f32 v[148:149], v[50:51], s[52:53], v[78:79] op_sel_hi:[1,0,1]
	v_pk_fma_f32 v[152:153], v[50:51], s[52:53], v[78:79] op_sel_hi:[1,0,1] neg_lo:[0,0,1] neg_hi:[0,0,1]
	v_mov_b32_e32 v78, v148
	v_mov_b32_e32 v79, v153
	v_pk_add_f32 v[58:59], v[78:79], v[58:59]
	v_pk_mul_f32 v[78:79], v[76:77], s[28:29] op_sel:[1,0] op_sel_hi:[0,0]
	v_pk_fma_f32 v[154:155], v[52:53], s[20:21], v[78:79] op_sel_hi:[1,0,1]
	v_pk_fma_f32 v[156:157], v[52:53], s[20:21], v[78:79] op_sel_hi:[1,0,1] neg_lo:[0,0,1] neg_hi:[0,0,1]
	;; [unrolled: 6-line block ×5, first 2 shown]
	v_mov_b32_e32 v78, v170
	v_mov_b32_e32 v79, v173
	v_pk_add_f32 v[58:59], v[78:79], v[58:59]
	s_waitcnt lgkmcnt(0)
	; wave barrier
	s_and_saveexec_b64 s[18:19], vcc
	s_cbranch_execz .LBB0_7
; %bb.6:
	v_pk_add_f32 v[2:3], v[2:3], v[0:1]
	v_pk_mul_f32 v[178:179], v[36:37], s[40:41]
	v_pk_add_f32 v[2:3], v[32:33], v[2:3]
	v_mov_b32_e32 v88, v69
	v_pk_add_f32 v[2:3], v[34:35], v[2:3]
	v_pk_add_f32 v[68:69], v[160:161], v[178:179] neg_lo:[0,1] neg_hi:[0,1]
	v_pk_add_f32 v[2:3], v[28:29], v[2:3]
	v_mov_b32_e32 v69, v159
	v_pk_add_f32 v[2:3], v[30:31], v[2:3]
	v_mov_b32_e32 v143, v141
	;; [unrolled: 2-line block ×6, first 2 shown]
	v_pk_add_f32 v[4:5], v[4:5], v[180:181]
	v_pk_mul_f32 v[2:3], v[36:37], s[22:23]
	v_pk_add_f32 v[4:5], v[6:7], v[4:5]
	v_pk_add_f32 v[6:7], v[68:69], v[0:1]
	;; [unrolled: 1-line block ×6, first 2 shown]
	v_pk_mul_f32 v[20:21], v[36:37], s[42:43]
	v_pk_add_f32 v[6:7], v[152:153], v[6:7]
	v_pk_mul_f32 v[22:23], v[38:39], s[6:7]
	v_pk_add_f32 v[6:7], v[156:157], v[6:7]
	v_pk_add_f32 v[4:5], v[16:17], v[4:5]
	;; [unrolled: 1-line block ×3, first 2 shown]
	v_mov_b32_e32 v169, v167
	v_pk_add_f32 v[90:91], v[90:91], v[20:21] neg_lo:[0,1] neg_hi:[0,1]
	v_pk_mul_f32 v[20:21], v[38:39], s[0:1]
	v_pk_add_f32 v[92:93], v[92:93], v[22:23] neg_lo:[0,1] neg_hi:[0,1]
	v_pk_add_f32 v[66:67], v[66:67], v[2:3] neg_lo:[0,1] neg_hi:[0,1]
	v_pk_add_f32 v[4:5], v[18:19], v[4:5]
	v_pk_add_f32 v[6:7], v[168:169], v[6:7]
	v_mov_b32_e32 v173, v171
	v_mov_b32_e32 v91, v107
	;; [unrolled: 1-line block ×4, first 2 shown]
	v_pk_add_f32 v[64:65], v[72:73], v[20:21] neg_lo:[0,1] neg_hi:[0,1]
	v_add_lshl_u32 v89, v185, v116, 3
	v_pk_add_f32 v[4:5], v[56:57], v[4:5]
	v_pk_add_f32 v[6:7], v[172:173], v[6:7]
	v_mov_b32_e32 v65, v71
	ds_write2_b64 v89, v[4:5], v[6:7] offset1:1
	v_pk_add_f32 v[4:5], v[66:67], v[0:1]
	v_pk_add_f32 v[6:7], v[90:91], v[0:1]
	v_mov_b32_e32 v83, v121
	v_pk_add_f32 v[4:5], v[64:65], v[4:5]
	v_mov_b32_e32 v87, v85
	v_pk_add_f32 v[6:7], v[92:93], v[6:7]
	v_pk_add_f32 v[4:5], v[86:87], v[4:5]
	v_mov_b32_e32 v101, v99
	v_pk_add_f32 v[6:7], v[82:83], v[6:7]
	v_mov_b32_e32 v97, v95
	;; [unrolled: 2-line block ×10, first 2 shown]
	v_pk_mul_f32 v[20:21], v[40:41], s[44:45]
	v_pk_add_f32 v[4:5], v[136:137], v[4:5]
	v_pk_add_f32 v[6:7], v[132:133], v[6:7]
	s_mov_b32 s25, s10
	ds_write2_b64 v89, v[4:5], v[6:7] offset0:2 offset1:3
	v_pk_fma_f32 v[6:7], v[36:37], s[0:1], v[20:21] neg_lo:[1,0,0] neg_hi:[1,0,0]
	v_pk_fma_f32 v[4:5], v[36:37], s[0:1], v[20:21]
	s_mov_b32 s11, s24
	v_pk_mul_f32 v[2:3], v[42:43], s[24:25]
	v_mov_b32_e32 v7, v5
	v_pk_add_f32 v[8:9], v[6:7], v[0:1]
	v_pk_fma_f32 v[10:11], v[88:89], s[10:11], v[2:3] neg_lo:[1,0,0] neg_hi:[1,0,0]
	v_pk_fma_f32 v[6:7], v[38:39], s[10:11], v[2:3]
	s_mov_b32 s21, s28
	s_mov_b32 s17, s20
	v_mov_b32_e32 v11, v7
	v_pk_mul_f32 v[22:23], v[40:41], s[20:21]
	s_mov_b32 s21, s16
	v_pk_add_f32 v[16:17], v[10:11], v[8:9]
	v_pk_mul_f32 v[10:11], v[48:49], s[16:17] op_sel_hi:[1,0]
	v_mov_b32_e32 v80, v75
	v_pk_fma_f32 v[8:9], v[46:47], s[20:21], v[10:11] op_sel:[0,0,1] op_sel_hi:[1,0,0] neg_lo:[0,0,1] neg_hi:[0,0,1]
	v_pk_fma_f32 v[10:11], v[46:47], s[20:21], v[10:11] op_sel:[0,0,1] op_sel_hi:[1,0,0]
	v_mov_b32_e32 v81, v74
	s_mov_b32 s39, s41
	v_mov_b32_e32 v18, v8
	v_mov_b32_e32 v19, v11
	v_pk_add_f32 v[56:57], v[18:19], v[16:17]
	s_mov_b32 s52, s41
	v_pk_mul_f32 v[18:19], v[80:81], s[38:39] op_sel_hi:[1,0]
	v_mov_b32_e32 v78, v77
	v_pk_fma_f32 v[16:17], v[50:51], s[52:53], v[18:19] op_sel_hi:[1,0,1] neg_lo:[0,0,1] neg_hi:[0,0,1]
	v_pk_fma_f32 v[18:19], v[50:51], s[52:53], v[18:19] op_sel_hi:[1,0,1]
	v_mov_b32_e32 v79, v76
	v_mov_b32_e32 v64, v16
	;; [unrolled: 1-line block ×3, first 2 shown]
	v_pk_add_f32 v[66:67], v[64:65], v[56:57]
	s_mov_b32 s44, s43
	v_pk_mul_f32 v[64:65], v[78:79], s[42:43] op_sel_hi:[1,0]
	v_mov_b32_e32 v76, v139
	v_pk_fma_f32 v[56:57], v[52:53], s[44:45], v[64:65] op_sel_hi:[1,0,1] neg_lo:[0,0,1] neg_hi:[0,0,1]
	v_pk_fma_f32 v[64:65], v[52:53], s[44:45], v[64:65] op_sel_hi:[1,0,1]
	v_mov_b32_e32 v77, v138
	s_mov_b32 s31, s14
	s_mov_b32 s35, s30
	v_mov_b32_e32 v68, v56
	v_mov_b32_e32 v69, v65
	v_pk_mul_f32 v[24:25], v[42:43], s[30:31]
	s_mov_b32 s31, s34
	v_pk_add_f32 v[70:71], v[68:69], v[66:67]
	v_pk_mul_f32 v[68:69], v[76:77], s[34:35] op_sel_hi:[1,0]
	v_mov_b32_e32 v74, v151
	v_pk_fma_f32 v[66:67], v[54:55], s[30:31], v[68:69] op_sel_hi:[1,0,1] neg_lo:[0,0,1] neg_hi:[0,0,1]
	v_pk_fma_f32 v[68:69], v[54:55], s[30:31], v[68:69] op_sel_hi:[1,0,1]
	v_mov_b32_e32 v75, v150
	v_pk_mul_f32 v[26:27], v[40:41], s[46:47]
	s_mov_b32 s46, s43
	s_mov_b32 s47, s26
	v_mov_b32_e32 v72, v66
	v_mov_b32_e32 v73, v69
	s_mov_b32 s54, 0x3f4c4adb
	v_pk_mul_f32 v[32:33], v[42:43], s[46:47]
	v_pk_add_f32 v[82:83], v[72:73], v[70:71]
	s_mov_b32 s46, s7
	v_pk_mul_f32 v[72:73], v[74:75], s[54:55] op_sel_hi:[1,0]
	v_mov_b32_e32 v34, v175
	v_pk_fma_f32 v[70:71], v[60:61], s[46:47], v[72:73] op_sel_hi:[1,0,1] neg_lo:[0,0,1] neg_hi:[0,0,1]
	v_pk_fma_f32 v[72:73], v[60:61], s[46:47], v[72:73] op_sel_hi:[1,0,1]
	v_mov_b32_e32 v35, v174
	v_mov_b32_e32 v84, v70
	;; [unrolled: 1-line block ×3, first 2 shown]
	v_pk_add_f32 v[86:87], v[84:85], v[82:83]
	s_mov_b32 s50, s23
	v_pk_mul_f32 v[84:85], v[34:35], s[36:37] op_sel_hi:[1,0]
	s_mov_b32 s29, s20
	v_pk_fma_f32 v[82:83], v[62:63], s[50:51], v[84:85] op_sel_hi:[1,0,1] neg_lo:[0,0,1] neg_hi:[0,0,1]
	v_pk_fma_f32 v[84:85], v[62:63], s[50:51], v[84:85] op_sel_hi:[1,0,1]
	v_mov_b32_e32 v90, v82
	v_mov_b32_e32 v91, v85
	v_pk_add_f32 v[118:119], v[90:91], v[86:87]
	v_pk_fma_f32 v[90:91], v[36:37], s[28:29], v[22:23] neg_lo:[1,0,0] neg_hi:[1,0,0]
	v_pk_fma_f32 v[86:87], v[36:37], s[28:29], v[22:23]
	s_mov_b32 s15, s30
	v_mov_b32_e32 v91, v87
	v_pk_add_f32 v[92:93], v[90:91], v[0:1]
	v_pk_fma_f32 v[96:97], v[88:89], s[14:15], v[24:25] neg_lo:[1,0,0] neg_hi:[1,0,0]
	v_pk_fma_f32 v[90:91], v[38:39], s[14:15], v[24:25]
	v_pk_mul_f32 v[94:95], v[48:49], s[36:37] op_sel_hi:[1,0]
	v_mov_b32_e32 v97, v91
	v_pk_add_f32 v[96:97], v[96:97], v[92:93]
	v_pk_fma_f32 v[92:93], v[46:47], s[50:51], v[94:95] op_sel:[0,0,1] op_sel_hi:[1,0,0] neg_lo:[0,0,1] neg_hi:[0,0,1]
	v_pk_fma_f32 v[94:95], v[46:47], s[50:51], v[94:95] op_sel:[0,0,1] op_sel_hi:[1,0,0]
	v_pk_mul_f32 v[98:99], v[80:81], s[42:43] op_sel_hi:[1,0]
	v_mov_b32_e32 v100, v92
	v_mov_b32_e32 v101, v95
	v_pk_add_f32 v[100:101], v[100:101], v[96:97]
	v_pk_fma_f32 v[96:97], v[50:51], s[44:45], v[98:99] op_sel_hi:[1,0,1] neg_lo:[0,0,1] neg_hi:[0,0,1]
	v_pk_fma_f32 v[98:99], v[50:51], s[44:45], v[98:99] op_sel_hi:[1,0,1]
	v_pk_mul_f32 v[102:103], v[78:79], s[10:11] op_sel_hi:[1,0]
	v_mov_b32_e32 v104, v96
	v_mov_b32_e32 v105, v99
	s_mov_b32 s48, 0x3f7ee86f
	v_pk_add_f32 v[104:105], v[104:105], v[100:101]
	v_pk_fma_f32 v[100:101], v[52:53], s[24:25], v[102:103] op_sel_hi:[1,0,1] neg_lo:[0,0,1] neg_hi:[0,0,1]
	v_pk_fma_f32 v[102:103], v[52:53], s[24:25], v[102:103] op_sel_hi:[1,0,1]
	s_mov_b32 s42, s1
	v_pk_mul_f32 v[106:107], v[76:77], s[48:49] op_sel_hi:[1,0]
	v_mov_b32_e32 v108, v100
	v_mov_b32_e32 v109, v103
	v_pk_add_f32 v[108:109], v[108:109], v[104:105]
	v_pk_fma_f32 v[104:105], v[54:55], s[42:43], v[106:107] op_sel_hi:[1,0,1] neg_lo:[0,0,1] neg_hi:[0,0,1]
	v_pk_fma_f32 v[106:107], v[54:55], s[42:43], v[106:107] op_sel_hi:[1,0,1]
	v_pk_mul_f32 v[110:111], v[74:75], s[40:41] op_sel_hi:[1,0]
	v_mov_b32_e32 v112, v104
	v_mov_b32_e32 v113, v107
	v_pk_add_f32 v[112:113], v[112:113], v[108:109]
	v_pk_fma_f32 v[108:109], v[60:61], s[52:53], v[110:111] op_sel_hi:[1,0,1] neg_lo:[0,0,1] neg_hi:[0,0,1]
	v_pk_fma_f32 v[110:111], v[60:61], s[52:53], v[110:111] op_sel_hi:[1,0,1]
	;; [unrolled: 6-line block ×3, first 2 shown]
	v_pk_mul_f32 v[28:29], v[42:43], s[20:21]
	v_mov_b32_e32 v122, v112
	v_mov_b32_e32 v123, v115
	v_pk_fma_f32 v[130:131], v[36:37], s[6:7], v[26:27] neg_lo:[1,0,0] neg_hi:[1,0,0]
	v_pk_fma_f32 v[132:133], v[36:37], s[6:7], v[26:27]
	v_pk_add_f32 v[120:121], v[122:123], v[120:121]
	v_mov_b32_e32 v131, v133
	v_pk_fma_f32 v[134:135], v[88:89], s[16:17], v[28:29] neg_lo:[1,0,0] neg_hi:[1,0,0]
	v_pk_fma_f32 v[136:137], v[38:39], s[16:17], v[28:29]
	ds_write2_b64 v89, v[118:119], v[120:121] offset0:4 offset1:5
	v_pk_mul_f32 v[118:119], v[48:49], s[40:41] op_sel_hi:[1,0]
	v_pk_add_f32 v[130:131], v[130:131], v[0:1]
	v_mov_b32_e32 v135, v137
	v_pk_add_f32 v[130:131], v[134:135], v[130:131]
	v_pk_fma_f32 v[134:135], v[46:47], s[52:53], v[118:119] op_sel:[0,0,1] op_sel_hi:[1,0,0] neg_lo:[0,0,1] neg_hi:[0,0,1]
	v_pk_fma_f32 v[118:119], v[46:47], s[52:53], v[118:119] op_sel:[0,0,1] op_sel_hi:[1,0,0]
	v_pk_mul_f32 v[120:121], v[80:81], s[34:35] op_sel_hi:[1,0]
	v_mov_b32_e32 v138, v134
	v_mov_b32_e32 v139, v119
	v_pk_add_f32 v[130:131], v[138:139], v[130:131]
	v_pk_fma_f32 v[138:139], v[50:51], s[30:31], v[120:121] op_sel_hi:[1,0,1] neg_lo:[0,0,1] neg_hi:[0,0,1]
	v_pk_fma_f32 v[120:121], v[50:51], s[30:31], v[120:121] op_sel_hi:[1,0,1]
	v_pk_mul_f32 v[122:123], v[78:79], s[48:49] op_sel_hi:[1,0]
	v_mov_b32_e32 v140, v138
	v_mov_b32_e32 v141, v121
	v_pk_add_f32 v[130:131], v[140:141], v[130:131]
	v_pk_fma_f32 v[140:141], v[52:53], s[42:43], v[122:123] op_sel_hi:[1,0,1] neg_lo:[0,0,1] neg_hi:[0,0,1]
	v_pk_fma_f32 v[122:123], v[52:53], s[42:43], v[122:123] op_sel_hi:[1,0,1]
	;; [unrolled: 6-line block ×3, first 2 shown]
	v_pk_mul_f32 v[126:127], v[74:75], s[10:11] op_sel_hi:[1,0]
	v_mov_b32_e32 v144, v142
	v_mov_b32_e32 v145, v125
	s_mov_b32 s27, s43
	v_pk_add_f32 v[130:131], v[144:145], v[130:131]
	v_pk_fma_f32 v[144:145], v[60:61], s[24:25], v[126:127] op_sel_hi:[1,0,1] neg_lo:[0,0,1] neg_hi:[0,0,1]
	v_pk_fma_f32 v[126:127], v[60:61], s[24:25], v[126:127] op_sel_hi:[1,0,1]
	v_pk_mul_f32 v[30:31], v[40:41], s[30:31]
	v_pk_mul_f32 v[128:129], v[34:35], s[26:27] op_sel_hi:[1,0]
	v_mov_b32_e32 v146, v144
	v_mov_b32_e32 v147, v127
	v_pk_add_f32 v[130:131], v[146:147], v[130:131]
	v_pk_fma_f32 v[146:147], v[62:63], s[44:45], v[128:129] op_sel_hi:[1,0,1] neg_lo:[0,0,1] neg_hi:[0,0,1]
	v_pk_fma_f32 v[128:129], v[62:63], s[44:45], v[128:129] op_sel_hi:[1,0,1]
	v_pk_fma_f32 v[152:153], v[36:37], s[34:35], v[30:31] neg_lo:[1,0,0] neg_hi:[1,0,0]
	v_pk_fma_f32 v[154:155], v[36:37], s[34:35], v[30:31]
	v_mov_b32_e32 v148, v146
	v_mov_b32_e32 v149, v129
	;; [unrolled: 1-line block ×3, first 2 shown]
	v_pk_fma_f32 v[156:157], v[88:89], s[26:27], v[32:33] neg_lo:[1,0,0] neg_hi:[1,0,0]
	v_pk_fma_f32 v[158:159], v[38:39], s[26:27], v[32:33]
	v_pk_add_f32 v[130:131], v[148:149], v[130:131]
	v_pk_mul_f32 v[148:149], v[48:49], s[0:1] op_sel_hi:[1,0]
	v_pk_add_f32 v[152:153], v[152:153], v[0:1]
	v_mov_b32_e32 v157, v159
	v_pk_add_f32 v[152:153], v[156:157], v[152:153]
	v_pk_fma_f32 v[156:157], v[46:47], s[42:43], v[148:149] op_sel:[0,0,1] op_sel_hi:[1,0,0] neg_lo:[0,0,1] neg_hi:[0,0,1]
	v_pk_fma_f32 v[148:149], v[46:47], s[42:43], v[148:149] op_sel:[0,0,1] op_sel_hi:[1,0,0]
	v_pk_mul_f32 v[150:151], v[80:81], s[54:55] op_sel_hi:[1,0]
	v_mov_b32_e32 v160, v156
	v_mov_b32_e32 v161, v149
	v_pk_add_f32 v[152:153], v[160:161], v[152:153]
	v_pk_fma_f32 v[160:161], v[50:51], s[46:47], v[150:151] op_sel_hi:[1,0,1] neg_lo:[0,0,1] neg_hi:[0,0,1]
	v_pk_fma_f32 v[150:151], v[50:51], s[46:47], v[150:151] op_sel_hi:[1,0,1]
	v_mov_b32_e32 v162, v160
	v_mov_b32_e32 v163, v151
	v_pk_add_f32 v[152:153], v[162:163], v[152:153]
	v_pk_mul_f32 v[162:163], v[78:79], s[40:41] op_sel_hi:[1,0]
	v_pk_mul_f32 v[40:41], v[40:41], s[24:25]
	v_pk_fma_f32 v[164:165], v[52:53], s[52:53], v[162:163] op_sel_hi:[1,0,1] neg_lo:[0,0,1] neg_hi:[0,0,1]
	v_pk_fma_f32 v[162:163], v[52:53], s[52:53], v[162:163] op_sel_hi:[1,0,1]
	v_mov_b32_e32 v166, v164
	v_mov_b32_e32 v167, v163
	v_pk_add_f32 v[152:153], v[166:167], v[152:153]
	v_pk_mul_f32 v[166:167], v[76:77], s[10:11] op_sel_hi:[1,0]
	s_mov_b32 s22, s41
	v_pk_fma_f32 v[168:169], v[54:55], s[24:25], v[166:167] op_sel_hi:[1,0,1] neg_lo:[0,0,1] neg_hi:[0,0,1]
	v_pk_fma_f32 v[166:167], v[54:55], s[24:25], v[166:167] op_sel_hi:[1,0,1]
	v_mov_b32_e32 v170, v168
	v_mov_b32_e32 v171, v167
	v_pk_add_f32 v[152:153], v[170:171], v[152:153]
	v_pk_mul_f32 v[170:171], v[74:75], s[36:37] op_sel_hi:[1,0]
	s_mov_b32 s23, s38
	v_pk_fma_f32 v[172:173], v[60:61], s[50:51], v[170:171] op_sel_hi:[1,0,1] neg_lo:[0,0,1] neg_hi:[0,0,1]
	v_pk_fma_f32 v[170:171], v[60:61], s[50:51], v[170:171] op_sel_hi:[1,0,1]
	v_mov_b32_e32 v174, v172
	v_mov_b32_e32 v175, v171
	v_pk_add_f32 v[152:153], v[174:175], v[152:153]
	v_pk_mul_f32 v[174:175], v[34:35], s[28:29] op_sel_hi:[1,0]
	v_pk_mul_f32 v[42:43], v[42:43], s[22:23]
	v_pk_fma_f32 v[178:179], v[62:63], s[20:21], v[174:175] op_sel_hi:[1,0,1] neg_lo:[0,0,1] neg_hi:[0,0,1]
	v_pk_fma_f32 v[174:175], v[62:63], s[20:21], v[174:175] op_sel_hi:[1,0,1]
	v_mov_b32_e32 v180, v178
	v_mov_b32_e32 v181, v175
	v_pk_add_f32 v[152:153], v[180:181], v[152:153]
	ds_write2_b64 v89, v[130:131], v[152:153] offset0:6 offset1:7
	v_pk_fma_f32 v[130:131], v[36:37], s[10:11], v[40:41] neg_lo:[1,0,0] neg_hi:[1,0,0]
	v_pk_fma_f32 v[152:153], v[36:37], s[10:11], v[40:41]
	v_pk_fma_f32 v[180:181], v[88:89], s[38:39], v[42:43] neg_lo:[1,0,0] neg_hi:[1,0,0]
	v_mov_b32_e32 v131, v153
	v_pk_fma_f32 v[182:183], v[38:39], s[38:39], v[42:43]
	v_pk_add_f32 v[130:131], v[130:131], v[0:1]
	v_mov_b32_e32 v181, v183
	v_pk_mul_f32 v[48:49], v[48:49], s[34:35] op_sel_hi:[1,0]
	v_pk_add_f32 v[130:131], v[180:181], v[130:131]
	v_pk_fma_f32 v[180:181], v[46:47], s[30:31], v[48:49] op_sel:[0,0,1] op_sel_hi:[1,0,0] neg_lo:[0,0,1] neg_hi:[0,0,1]
	v_pk_fma_f32 v[46:47], v[46:47], s[30:31], v[48:49] op_sel:[0,0,1] op_sel_hi:[1,0,0]
	v_mov_b32_e32 v48, v180
	v_mov_b32_e32 v49, v47
	v_pk_mul_f32 v[80:81], v[80:81], s[36:37] op_sel_hi:[1,0]
	v_pk_add_f32 v[48:49], v[48:49], v[130:131]
	v_pk_fma_f32 v[130:131], v[50:51], s[50:51], v[80:81] op_sel_hi:[1,0,1] neg_lo:[0,0,1] neg_hi:[0,0,1]
	v_pk_fma_f32 v[50:51], v[50:51], s[50:51], v[80:81] op_sel_hi:[1,0,1]
	v_mov_b32_e32 v80, v130
	v_mov_b32_e32 v81, v51
	v_pk_mul_f32 v[78:79], v[78:79], s[6:7] op_sel_hi:[1,0]
	v_pk_fma_f32 v[40:41], v[36:37], s[10:11], v[40:41] neg_lo:[0,0,1] neg_hi:[0,0,1]
	v_pk_fma_f32 v[30:31], v[36:37], s[34:35], v[30:31] neg_lo:[0,0,1] neg_hi:[0,0,1]
	;; [unrolled: 1-line block ×5, first 2 shown]
	v_pk_add_f32 v[48:49], v[80:81], v[48:49]
	v_pk_fma_f32 v[80:81], v[52:53], s[46:47], v[78:79] op_sel_hi:[1,0,1] neg_lo:[0,0,1] neg_hi:[0,0,1]
	v_pk_fma_f32 v[52:53], v[52:53], s[46:47], v[78:79] op_sel_hi:[1,0,1]
	v_mov_b32_e32 v153, v41
	v_pk_fma_f32 v[40:41], v[38:39], s[38:39], v[42:43] neg_lo:[0,0,1] neg_hi:[0,0,1]
	v_mov_b32_e32 v155, v31
	v_pk_fma_f32 v[32:33], v[38:39], s[26:27], v[32:33] neg_lo:[0,0,1] neg_hi:[0,0,1]
	;; [unrolled: 2-line block ×5, first 2 shown]
	v_mov_b32_e32 v78, v80
	v_mov_b32_e32 v79, v53
	v_pk_mul_f32 v[76:77], v[76:77], s[26:27] op_sel_hi:[1,0]
	v_mov_b32_e32 v183, v41
	v_pk_add_f32 v[40:41], v[152:153], v[0:1]
	v_pk_add_f32 v[30:31], v[154:155], v[0:1]
	v_mov_b32_e32 v159, v33
	v_pk_add_f32 v[26:27], v[132:133], v[0:1]
	v_mov_b32_e32 v137, v29
	;; [unrolled: 2-line block ×4, first 2 shown]
	v_pk_add_f32 v[48:49], v[78:79], v[48:49]
	v_pk_fma_f32 v[78:79], v[54:55], s[44:45], v[76:77] op_sel_hi:[1,0,1] neg_lo:[0,0,1] neg_hi:[0,0,1]
	v_pk_fma_f32 v[54:55], v[54:55], s[44:45], v[76:77] op_sel_hi:[1,0,1]
	v_pk_add_f32 v[40:41], v[182:183], v[40:41]
	v_mov_b32_e32 v47, v181
	v_pk_add_f32 v[30:31], v[158:159], v[30:31]
	v_mov_b32_e32 v149, v157
	;; [unrolled: 2-line block ×5, first 2 shown]
	v_mov_b32_e32 v76, v78
	v_mov_b32_e32 v77, v55
	v_pk_mul_f32 v[74:75], v[74:75], s[28:29] op_sel_hi:[1,0]
	v_pk_add_f32 v[40:41], v[46:47], v[40:41]
	v_mov_b32_e32 v51, v131
	v_pk_add_f32 v[30:31], v[148:149], v[30:31]
	v_mov_b32_e32 v151, v161
	;; [unrolled: 2-line block ×5, first 2 shown]
	v_pk_add_f32 v[48:49], v[76:77], v[48:49]
	v_pk_fma_f32 v[76:77], v[60:61], s[20:21], v[74:75] op_sel_hi:[1,0,1] neg_lo:[0,0,1] neg_hi:[0,0,1]
	v_pk_fma_f32 v[60:61], v[60:61], s[20:21], v[74:75] op_sel_hi:[1,0,1]
	v_pk_add_f32 v[40:41], v[50:51], v[40:41]
	v_mov_b32_e32 v53, v81
	v_pk_add_f32 v[30:31], v[150:151], v[30:31]
	v_mov_b32_e32 v163, v165
	;; [unrolled: 2-line block ×5, first 2 shown]
	v_mov_b32_e32 v74, v76
	v_mov_b32_e32 v75, v61
	v_pk_mul_f32 v[34:35], v[34:35], s[48:49] op_sel_hi:[1,0]
	v_pk_add_f32 v[40:41], v[52:53], v[40:41]
	v_mov_b32_e32 v55, v79
	v_pk_add_f32 v[30:31], v[162:163], v[30:31]
	v_mov_b32_e32 v167, v169
	;; [unrolled: 2-line block ×5, first 2 shown]
	v_pk_add_f32 v[48:49], v[74:75], v[48:49]
	v_pk_fma_f32 v[74:75], v[62:63], s[42:43], v[34:35] op_sel_hi:[1,0,1] neg_lo:[0,0,1] neg_hi:[0,0,1]
	v_pk_fma_f32 v[34:35], v[62:63], s[42:43], v[34:35] op_sel_hi:[1,0,1]
	v_pk_add_f32 v[40:41], v[54:55], v[40:41]
	v_mov_b32_e32 v61, v77
	v_pk_add_f32 v[30:31], v[166:167], v[30:31]
	v_mov_b32_e32 v171, v173
	;; [unrolled: 2-line block ×5, first 2 shown]
	v_mov_b32_e32 v62, v74
	v_mov_b32_e32 v63, v35
	v_pk_add_f32 v[40:41], v[60:61], v[40:41]
	v_mov_b32_e32 v35, v75
	v_pk_add_f32 v[30:31], v[170:171], v[30:31]
	;; [unrolled: 2-line block ×6, first 2 shown]
	v_pk_add_f32 v[34:35], v[34:35], v[40:41]
	v_pk_add_f32 v[30:31], v[174:175], v[30:31]
	;; [unrolled: 1-line block ×5, first 2 shown]
	ds_write2_b64 v89, v[48:49], v[34:35] offset0:8 offset1:9
	ds_write2_b64 v89, v[30:31], v[26:27] offset0:10 offset1:11
	;; [unrolled: 1-line block ×4, first 2 shown]
	ds_write_b64 v89, v[58:59] offset:128
.LBB0_7:
	s_or_b64 exec, exec, s[18:19]
	v_mul_u32_u24_e32 v0, 6, v177
	v_lshlrev_b32_e32 v20, 3, v0
	s_load_dwordx4 s[0:3], s[2:3], 0x0
	s_waitcnt lgkmcnt(0)
	; wave barrier
	s_waitcnt lgkmcnt(0)
	global_load_dwordx4 v[0:3], v20, s[4:5] offset:16
	global_load_dwordx4 v[8:11], v20, s[4:5]
	global_load_dwordx4 v[4:7], v20, s[4:5] offset:32
	v_add_lshl_u32 v236, v185, v177, 3
	ds_read2_b64 v[22:25], v236 offset0:68 offset1:85
	ds_read2_b64 v[26:29], v236 offset0:102 offset1:119
	;; [unrolled: 1-line block ×6, first 2 shown]
	ds_read2_b64 v[16:19], v236 offset1:17
	s_waitcnt lgkmcnt(5)
	v_mov_b32_e32 v54, v29
	v_mov_b32_e32 v55, v24
	s_waitcnt lgkmcnt(4)
	v_mov_b32_e32 v64, v33
	s_waitcnt lgkmcnt(3)
	v_mov_b32_e32 v65, v36
	v_mov_b32_e32 v42, v28
	v_mov_b32_e32 v43, v25
	v_mov_b32_e32 v57, v29
	s_waitcnt lgkmcnt(2)
	v_mov_b32_e32 v60, v41
	v_mov_b32_e32 v61, v28
	v_mov_b32_e32 v62, v32
	;; [unrolled: 5-line block ×3, first 2 shown]
	v_mov_b32_e32 v66, v52
	v_mov_b32_e32 v67, v33
	s_mov_b32 s14, 0x3eae86e6
	s_mov_b32 s6, 0x3d64c772
	;; [unrolled: 1-line block ×6, first 2 shown]
	v_mov_b32_e32 v21, 0
	s_mov_b32 s10, 0x3f955555
	s_mov_b32 s16, s7
	;; [unrolled: 1-line block ×3, first 2 shown]
	v_lshl_add_u64 v[20:21], s[4:5], 0, v[20:21]
	s_mov_b32 s4, 0x3ee1c552
	s_waitcnt lgkmcnt(0)
	; wave barrier
	s_waitcnt lgkmcnt(0)
	v_lshl_add_u32 v237, v177, 3, v176
	s_waitcnt vmcnt(2)
	v_mov_b32_e32 v78, v1
	s_waitcnt vmcnt(1)
	v_mov_b32_e32 v79, v11
	v_mul_f32_e32 v46, v25, v11
	v_mov_b32_e32 v82, v3
	s_waitcnt vmcnt(0)
	v_mov_b32_e32 v83, v5
	v_pk_mul_f32 v[54:55], v[54:55], v[78:79]
	v_mov_b32_e32 v49, v0
	v_mul_f32_e32 v71, v27, v0
	v_mul_f32_e32 v47, v37, v5
	v_mov_b32_e32 v25, v10
	v_mov_b32_e32 v80, v2
	;; [unrolled: 1-line block ×5, first 2 shown]
	v_fma_f32 v37, v24, v10, -v46
	v_mov_b32_e32 v24, v0
	v_pk_mul_f32 v[64:65], v[64:65], v[82:83]
	v_pk_fma_f32 v[28:29], v[28:29], v[0:1], v[54:55] neg_lo:[0,0,1] neg_hi:[0,0,1]
	v_mov_b32_e32 v0, v9
	v_mov_b32_e32 v48, v8
	v_mov_b32_e32 v136, v6
	v_mov_b32_e32 v137, v2
	v_pk_mul_f32 v[68:69], v[68:69], v[84:85]
	v_pk_fma_f32 v[24:25], v[42:43], v[24:25], v[54:55]
	v_pk_fma_f32 v[32:33], v[32:33], v[2:3], v[64:65] neg_lo:[0,0,1] neg_hi:[0,0,1]
	v_pk_fma_f32 v[42:43], v[62:63], v[80:81], v[64:65]
	v_pk_mul_f32 v[60:61], v[60:61], v[0:1]
	v_mul_f32_e32 v40, v40, v9
	v_mul_f32_e32 v52, v52, v7
	v_fma_f32 v87, v36, v4, -v47
	v_pk_fma_f32 v[54:55], v[66:67], v[136:137], v[68:69] neg_lo:[0,0,1] neg_hi:[0,0,1]
	v_pk_fma_f32 v[62:63], v[66:67], v[136:137], v[68:69]
	v_mov_b32_e32 v29, v25
	v_mov_b32_e32 v33, v43
	;; [unrolled: 1-line block ×4, first 2 shown]
	v_pk_fma_f32 v[24:25], v[56:57], v[48:49], v[60:61] neg_lo:[0,0,1] neg_hi:[0,0,1]
	v_pk_fma_f32 v[42:43], v[56:57], v[48:49], v[60:61]
	v_fmac_f32_e32 v40, v41, v8
	v_fmac_f32_e32 v52, v53, v6
	v_mov_b32_e32 v55, v63
	v_mov_b32_e32 v53, v54
	;; [unrolled: 1-line block ×4, first 2 shown]
	v_pk_mul_f32 v[68:69], v[38:39], v[8:9] op_sel_hi:[1,0]
	v_mul_f32_e32 v75, v31, v2
	v_mul_f32_e32 v77, v30, v3
	;; [unrolled: 1-line block ×3, first 2 shown]
	v_add_f32_e32 v79, v40, v52
	v_pk_add_f32 v[40:41], v[40:41], v[52:53] neg_lo:[0,1] neg_hi:[0,1]
	v_pk_add_f32 v[52:53], v[28:29], v[32:33]
	v_pk_add_f32 v[24:25], v[24:25], v[54:55]
	v_mov_b32_e32 v54, v63
	v_mov_b32_e32 v55, v32
	;; [unrolled: 1-line block ×4, first 2 shown]
	v_pk_fma_f32 v[80:81], v[38:39], v[8:9], v[68:69] op_sel:[0,1,1] op_sel_hi:[1,1,0]
	v_pk_fma_f32 v[38:39], v[38:39], v[8:9], v[68:69] op_sel:[0,1,1] op_sel_hi:[1,1,0] neg_lo:[1,0,0] neg_hi:[1,0,0]
	v_mov_b32_e32 v68, v23
	v_mov_b32_e32 v69, v30
	;; [unrolled: 1-line block ×5, first 2 shown]
	v_fma_f32 v70, v22, v10, -v44
	v_add_f32_e32 v82, v37, v87
	v_pk_add_f32 v[36:37], v[36:37], v[86:87] neg_lo:[0,1] neg_hi:[0,1]
	v_pk_add_f32 v[28:29], v[54:55], v[32:33] neg_lo:[0,1] neg_hi:[0,1]
	v_mov_b32_e32 v84, v10
	v_mov_b32_e32 v85, v2
	v_pk_mul_f32 v[22:23], v[22:23], v[30:31]
	v_mul_f32_e32 v45, v35, v5
	v_add_f32_e32 v32, v82, v24
	v_add_f32_e32 v43, v53, v79
	v_mov_b32_e32 v78, v52
	v_mov_b32_e32 v83, v25
	;; [unrolled: 1-line block ×8, first 2 shown]
	v_pk_fma_f32 v[30:31], v[68:69], v[10:11], v[22:23]
	v_pk_fma_f32 v[22:23], v[68:69], v[84:85], v[22:23] neg_lo:[0,0,1] neg_hi:[0,0,1]
	v_mov_b32_e32 v68, v35
	v_mov_b32_e32 v35, v27
	;; [unrolled: 1-line block ×3, first 2 shown]
	v_mul_f32_e32 v73, v26, v1
	v_pk_add_f32 v[54:55], v[78:79], v[82:83] neg_lo:[0,1] neg_hi:[0,1]
	v_pk_add_f32 v[60:61], v[28:29], v[36:37]
	v_pk_add_f32 v[62:63], v[62:63], v[64:65] neg_lo:[0,1] neg_hi:[0,1]
	v_mov_b32_e32 v64, v40
	v_mov_b32_e32 v29, v37
	v_pk_add_f32 v[32:33], v[32:33], v[42:43]
	v_mov_b32_e32 v69, v26
	v_mov_b32_e32 v84, v4
	;; [unrolled: 1-line block ×3, first 2 shown]
	v_pk_mul_f32 v[26:27], v[34:35], v[0:1]
	v_fma_f32 v72, v34, v4, -v45
	v_pk_add_f32 v[56:57], v[24:25], v[52:53] neg_lo:[0,1] neg_hi:[0,1]
	v_pk_add_f32 v[28:29], v[64:65], v[28:29] neg_lo:[0,1] neg_hi:[0,1]
	v_pk_add_f32 v[18:19], v[18:19], v[32:33]
	v_pk_mul_f32 v[54:55], v[54:55], s[6:7]
	v_pk_mul_f32 v[62:63], v[62:63], s[18:19]
	v_pk_fma_f32 v[34:35], v[68:69], v[4:5], v[26:27]
	v_pk_fma_f32 v[26:27], v[68:69], v[84:85], v[26:27] neg_lo:[0,0,1] neg_hi:[0,0,1]
	v_pk_mul_f32 v[68:69], v[50:51], v[6:7] op_sel_hi:[1,0]
	v_mov_b32_e32 v0, v7
	v_pk_add_f32 v[42:43], v[60:61], v[40:41]
	v_pk_mul_f32 v[60:61], v[56:57], s[16:17]
	v_pk_mul_f32 v[64:65], v[28:29], s[14:15]
	v_pk_fma_f32 v[32:33], v[32:33], s[10:11], v[18:19] op_sel_hi:[1,0,1] neg_lo:[1,0,0] neg_hi:[1,0,0]
	v_pk_fma_f32 v[56:57], v[56:57], s[16:17], v[54:55]
	v_pk_fma_f32 v[28:29], v[28:29], s[14:15], v[62:63]
	v_pk_fma_f32 v[84:85], v[50:51], v[0:1], v[68:69] op_sel:[0,0,1] op_sel_hi:[1,0,0]
	v_pk_fma_f32 v[50:51], v[50:51], v[0:1], v[68:69] op_sel:[0,0,1] op_sel_hi:[1,0,0] neg_lo:[1,0,0] neg_hi:[1,0,0]
	v_pk_add_f32 v[56:57], v[56:57], v[32:33]
	v_pk_fma_f32 v[28:29], v[42:43], s[4:5], v[28:29] op_sel_hi:[1,0,1]
	v_mov_b32_e32 v81, v39
	v_mov_b32_e32 v31, v23
	;; [unrolled: 1-line block ×6, first 2 shown]
	v_pk_add_f32 v[66:67], v[56:57], v[28:29] neg_lo:[0,1] neg_hi:[0,1]
	v_pk_add_f32 v[28:29], v[56:57], v[28:29]
	v_pk_add_f32 v[56:57], v[70:71], v[72:73]
	;; [unrolled: 1-line block ×3, first 2 shown]
	v_pk_add_f32 v[80:81], v[80:81], v[84:85] neg_lo:[0,1] neg_hi:[0,1]
	v_pk_add_f32 v[84:85], v[30:31], v[34:35]
	v_pk_add_f32 v[30:31], v[30:31], v[34:35] neg_lo:[0,1] neg_hi:[0,1]
	v_pk_add_f32 v[34:35], v[74:75], v[76:77]
	v_mov_b32_e32 v39, v70
	v_mov_b32_e32 v38, v35
	;; [unrolled: 1-line block ×4, first 2 shown]
	v_pk_add_f32 v[38:39], v[38:39], v[50:51] neg_lo:[0,1] neg_hi:[0,1]
	v_mov_b32_e32 v26, v27
	v_mov_b32_e32 v27, v84
	;; [unrolled: 1-line block ×8, first 2 shown]
	v_pk_add_f32 v[30:31], v[30:31], v[38:39]
	v_pk_add_f32 v[38:39], v[56:57], v[34:35]
	;; [unrolled: 1-line block ×3, first 2 shown]
	v_mov_b32_e32 v57, v84
	v_mov_b32_e32 v35, v68
	;; [unrolled: 1-line block ×4, first 2 shown]
	v_pk_add_f32 v[26:27], v[56:57], v[34:35] neg_lo:[0,1] neg_hi:[0,1]
	v_pk_add_f32 v[34:35], v[34:35], v[68:69] neg_lo:[0,1] neg_hi:[0,1]
	v_pk_add_f32 v[22:23], v[38:39], v[22:23]
	s_mov_b32 s18, s7
	v_pk_add_f32 v[70:71], v[50:51], v[80:81] neg_lo:[0,1] neg_hi:[0,1]
	s_mov_b32 s16, 0x3f5ff5aa
	v_pk_add_f32 v[74:75], v[80:81], v[72:73] neg_lo:[0,1] neg_hi:[0,1]
	v_pk_add_f32 v[16:17], v[16:17], v[22:23]
	v_pk_mul_f32 v[34:35], v[34:35], s[18:19] op_sel_hi:[1,0]
	s_mov_b32 s18, 0x3f3bfb3b
	v_pk_mul_f32 v[70:71], v[70:71], s[16:17] op_sel_hi:[1,0]
	v_pk_mul_f32 v[76:77], v[74:75], s[14:15] op_sel_hi:[1,0]
	;; [unrolled: 1-line block ×3, first 2 shown]
	v_pk_fma_f32 v[22:23], v[22:23], s[10:11], v[16:17] op_sel_hi:[1,0,1] neg_lo:[1,0,0] neg_hi:[1,0,0]
	v_pk_add_f32 v[50:51], v[72:73], v[50:51] neg_lo:[0,1] neg_hi:[0,1]
	s_mov_b32 s10, s15
	v_pk_add_f32 v[56:57], v[68:69], v[56:57] neg_lo:[0,1] neg_hi:[0,1]
	v_pk_add_f32 v[30:31], v[30:31], v[80:81]
	v_pk_fma_f32 v[26:27], v[26:27], s[18:19], v[34:35] op_sel_hi:[1,0,1] neg_lo:[1,0,1] neg_hi:[1,0,1]
	v_pk_fma_f32 v[74:75], v[74:75], s[14:15], v[70:71] op_sel_hi:[1,0,1] neg_lo:[1,0,1] neg_hi:[1,0,1]
	;; [unrolled: 1-line block ×4, first 2 shown]
	v_pk_fma_f32 v[34:35], v[56:57], s[6:7], v[34:35] op_sel_hi:[1,0,1]
	v_pk_fma_f32 v[50:51], v[50:51], s[10:11], v[76:77] op_sel_hi:[1,0,1]
	v_pk_add_f32 v[26:27], v[26:27], v[22:23]
	v_pk_fma_f32 v[74:75], v[30:31], s[4:5], v[74:75] op_sel_hi:[1,0,1]
	v_pk_add_f32 v[38:39], v[38:39], v[22:23]
	;; [unrolled: 2-line block ×4, first 2 shown]
	v_pk_add_f32 v[34:35], v[22:23], v[30:31] neg_lo:[0,1] neg_hi:[0,1]
	v_pk_add_f32 v[22:23], v[22:23], v[30:31]
	v_pk_add_f32 v[26:27], v[26:27], v[74:75] neg_lo:[0,1] neg_hi:[0,1]
	v_pk_add_f32 v[70:71], v[38:39], v[68:69] neg_lo:[0,1] neg_hi:[0,1]
	v_pk_add_f32 v[38:39], v[38:39], v[68:69]
	v_mov_b32_e32 v30, v22
	v_mov_b32_e32 v31, v35
	ds_write2_b64 v236, v[16:17], v[30:31] offset1:17
	v_mov_b32_e32 v17, v27
	v_mov_b32_e32 v31, v39
	;; [unrolled: 1-line block ×7, first 2 shown]
	ds_write2_b64 v236, v[38:39], v[26:27] offset0:68 offset1:85
	ds_write2_b64 v236, v[34:35], v[18:19] offset0:102 offset1:119
	v_pk_add_f32 v[18:19], v[82:83], v[24:25] neg_lo:[0,1] neg_hi:[0,1]
	v_pk_add_f32 v[22:23], v[36:37], v[40:41] neg_lo:[0,1] neg_hi:[0,1]
	v_mov_b32_e32 v24, v60
	v_mov_b32_e32 v25, v55
	;; [unrolled: 1-line block ×4, first 2 shown]
	v_pk_fma_f32 v[24:25], v[18:19], s[18:19], v[24:25] op_sel_hi:[1,0,1] neg_lo:[1,0,1] neg_hi:[1,0,1]
	v_pk_fma_f32 v[26:27], v[22:23], s[16:17], v[26:27] op_sel_hi:[1,0,1] neg_lo:[1,0,1] neg_hi:[1,0,1]
	v_mov_b32_e32 v16, v80
	v_mov_b32_e32 v30, v70
	v_pk_add_f32 v[24:25], v[24:25], v[32:33]
	v_pk_fma_f32 v[26:27], v[42:43], s[4:5], v[26:27] op_sel_hi:[1,0,1]
	ds_write2_b64 v236, v[16:17], v[30:31] offset0:34 offset1:51
	v_pk_add_f32 v[30:31], v[24:25], v[26:27] neg_lo:[0,1] neg_hi:[0,1]
	v_pk_add_f32 v[24:25], v[24:25], v[26:27]
	v_mov_b32_e32 v16, v28
	v_mov_b32_e32 v17, v67
	v_mov_b32_e32 v26, v24
	v_mov_b32_e32 v27, v31
	v_mov_b32_e32 v55, v61
	v_mov_b32_e32 v63, v65
	ds_write2_b64 v236, v[16:17], v[26:27] offset0:136 offset1:153
	v_pk_fma_f32 v[16:17], v[18:19], s[18:19], v[54:55] op_sel_hi:[1,0,1] neg_lo:[0,0,1] neg_hi:[0,0,1]
	v_pk_fma_f32 v[18:19], v[22:23], s[16:17], v[62:63] op_sel_hi:[1,0,1] neg_lo:[0,0,1] neg_hi:[0,0,1]
	v_pk_add_f32 v[16:17], v[16:17], v[32:33]
	v_pk_fma_f32 v[18:19], v[42:43], s[4:5], v[18:19] op_sel_hi:[1,0,1]
	v_mov_b32_e32 v31, v25
	v_pk_add_f32 v[22:23], v[16:17], v[18:19]
	v_pk_add_f32 v[16:17], v[16:17], v[18:19] neg_lo:[0,1] neg_hi:[0,1]
	v_mov_b32_e32 v19, v23
	v_mov_b32_e32 v18, v16
	;; [unrolled: 1-line block ×3, first 2 shown]
	v_mul_hi_i32_i24_e32 v17, 0xffffffd8, v177
	v_mul_i32_i24_e32 v16, 0xffffffd8, v177
	v_mov_b32_e32 v67, v29
	v_lshl_add_u64 v[16:17], v[20:21], 0, v[16:17]
	ds_write2_b64 v236, v[18:19], v[22:23] offset0:170 offset1:187
	ds_write2_b64 v236, v[30:31], v[66:67] offset0:204 offset1:221
	s_waitcnt lgkmcnt(0)
	; wave barrier
	s_waitcnt lgkmcnt(0)
	global_load_dwordx2 v[62:63], v[16:17], off offset:816
	global_load_dwordx2 v[208:209], v[16:17], off offset:952
	;; [unrolled: 1-line block ×7, first 2 shown]
	ds_read2_b64 v[40:43], v236 offset0:102 offset1:119
	ds_read2_b64 v[22:25], v236 offset1:17
	ds_read2_b64 v[16:19], v236 offset0:136 offset1:153
	ds_read2_b64 v[26:29], v236 offset0:170 offset1:187
	v_add_u32_e32 v74, v184, v176
	s_waitcnt vmcnt(6)
	v_mov_b32_e32 v0, v63
	s_waitcnt lgkmcnt(3)
	v_pk_mul_f32 v[20:21], v[42:43], v[0:1] op_sel:[1,0] op_sel_hi:[0,1]
	v_pk_fma_f32 v[20:21], v[42:43], v[62:63], v[20:21] neg_lo:[0,0,1] neg_hi:[0,0,1]
	v_pk_mul_f32 v[30:31], v[42:43], v[62:63] op_sel:[1,0] op_sel_hi:[0,1]
	s_waitcnt vmcnt(5)
	v_mov_b32_e32 v0, v209
	v_mov_b32_e32 v21, v30
	s_waitcnt lgkmcnt(1)
	v_pk_mul_f32 v[30:31], v[16:17], v[0:1] op_sel:[1,0] op_sel_hi:[0,1]
	v_pk_fma_f32 v[36:37], v[16:17], v[208:209], v[30:31] neg_lo:[0,0,1] neg_hi:[0,0,1]
	v_pk_mul_f32 v[30:31], v[16:17], v[208:209] op_sel:[1,0] op_sel_hi:[0,1]
	v_pk_fma_f32 v[34:35], v[42:43], v[62:63], v[20:21] op_sel:[1,0,0] op_sel_hi:[0,1,1]
	v_mov_b32_e32 v21, v30
	s_waitcnt vmcnt(4)
	v_mov_b32_e32 v0, v55
	v_pk_fma_f32 v[38:39], v[16:17], v[208:209], v[20:21] op_sel:[1,0,0] op_sel_hi:[0,1,1]
	s_waitcnt lgkmcnt(0)
	v_pk_mul_f32 v[16:17], v[28:29], v[0:1] op_sel:[1,0] op_sel_hi:[0,1]
	v_pk_fma_f32 v[42:43], v[28:29], v[54:55], v[16:17] neg_lo:[0,0,1] neg_hi:[0,0,1]
	v_pk_mul_f32 v[16:17], v[28:29], v[54:55] op_sel:[1,0] op_sel_hi:[0,1]
	v_mov_b32_e32 v17, v16
	v_pk_fma_f32 v[70:71], v[28:29], v[54:55], v[16:17] op_sel:[1,0,0] op_sel_hi:[0,1,1]
	s_waitcnt vmcnt(3)
	v_pk_mul_f32 v[16:17], v[18:19], v[64:65] op_sel:[0,1]
	ds_read2_b64 v[30:33], v236 offset0:34 offset1:51
	v_pk_fma_f32 v[28:29], v[18:19], v[64:65], v[16:17] op_sel:[0,0,1] op_sel_hi:[1,1,0] neg_lo:[0,0,1] neg_hi:[0,0,1]
	v_pk_fma_f32 v[16:17], v[18:19], v[64:65], v[16:17] op_sel:[0,0,1] op_sel_hi:[1,0,0]
	v_mov_b32_e32 v21, v35
	v_mov_b32_e32 v29, v17
	s_waitcnt vmcnt(2)
	v_pk_mul_f32 v[16:17], v[26:27], v[60:61] op_sel:[0,1]
	v_pk_add_f32 v[18:19], v[22:23], v[20:21] neg_lo:[0,1] neg_hi:[0,1]
	v_pk_fma_f32 v[66:67], v[26:27], v[60:61], v[16:17] op_sel:[0,0,1] op_sel_hi:[1,1,0] neg_lo:[0,0,1] neg_hi:[0,0,1]
	v_pk_fma_f32 v[16:17], v[26:27], v[60:61], v[16:17] op_sel:[0,0,1] op_sel_hi:[1,0,0]
	v_mov_b32_e32 v37, v39
	v_mov_b32_e32 v67, v17
	v_pk_fma_f32 v[16:17], v[22:23], 2.0, v[18:19] op_sel_hi:[1,0,1] neg_lo:[0,0,1] neg_hi:[0,0,1]
	v_pk_add_f32 v[22:23], v[24:25], v[36:37] neg_lo:[0,1] neg_hi:[0,1]
	ds_read2_b64 v[34:37], v236 offset0:204 offset1:221
	s_waitcnt lgkmcnt(1)
	v_pk_add_f32 v[26:27], v[30:31], v[28:29] neg_lo:[0,1] neg_hi:[0,1]
	v_pk_fma_f32 v[20:21], v[24:25], 2.0, v[22:23] op_sel_hi:[1,0,1] neg_lo:[0,0,1] neg_hi:[0,0,1]
	v_pk_fma_f32 v[24:25], v[30:31], 2.0, v[26:27] op_sel_hi:[1,0,1] neg_lo:[0,0,1] neg_hi:[0,0,1]
	v_pk_add_f32 v[30:31], v[32:33], v[66:67] neg_lo:[0,1] neg_hi:[0,1]
	ds_read2_b64 v[66:69], v236 offset0:68 offset1:85
	v_pk_fma_f32 v[28:29], v[32:33], 2.0, v[30:31] op_sel_hi:[1,0,1] neg_lo:[0,0,1] neg_hi:[0,0,1]
	s_waitcnt vmcnt(1) lgkmcnt(1)
	v_pk_mul_f32 v[32:33], v[34:35], v[56:57] op_sel:[0,1]
	v_mov_b32_e32 v43, v71
	v_pk_fma_f32 v[38:39], v[34:35], v[56:57], v[32:33] op_sel:[0,0,1] op_sel_hi:[1,1,0] neg_lo:[0,0,1] neg_hi:[0,0,1]
	v_pk_fma_f32 v[32:33], v[34:35], v[56:57], v[32:33] op_sel:[0,0,1] op_sel_hi:[1,0,0]
	s_waitcnt lgkmcnt(0)
	v_pk_add_f32 v[34:35], v[66:67], v[42:43] neg_lo:[0,1] neg_hi:[0,1]
	v_mov_b32_e32 v39, v33
	s_waitcnt vmcnt(0)
	v_pk_mul_f32 v[32:33], v[36:37], v[52:53] op_sel:[0,1]
	v_pk_add_f32 v[38:39], v[68:69], v[38:39] neg_lo:[0,1] neg_hi:[0,1]
	v_pk_fma_f32 v[72:73], v[36:37], v[52:53], v[32:33] op_sel:[0,0,1] op_sel_hi:[1,1,0] neg_lo:[0,0,1] neg_hi:[0,0,1]
	v_pk_fma_f32 v[32:33], v[36:37], v[52:53], v[32:33] op_sel:[0,0,1] op_sel_hi:[1,0,0]
	v_pk_fma_f32 v[36:37], v[68:69], 2.0, v[38:39] op_sel_hi:[1,0,1] neg_lo:[0,0,1] neg_hi:[0,0,1]
	v_mov_b32_e32 v73, v33
	v_pk_add_f32 v[42:43], v[40:41], v[72:73] neg_lo:[0,1] neg_hi:[0,1]
	v_pk_fma_f32 v[32:33], v[66:67], 2.0, v[34:35] op_sel_hi:[1,0,1] neg_lo:[0,0,1] neg_hi:[0,0,1]
	v_pk_fma_f32 v[40:41], v[40:41], 2.0, v[42:43] op_sel_hi:[1,0,1] neg_lo:[0,0,1] neg_hi:[0,0,1]
	ds_write2_b64 v237, v[16:17], v[20:21] offset1:17
	ds_write2_b64 v237, v[18:19], v[22:23] offset0:119 offset1:136
	ds_write_b64 v237, v[24:25] offset:272
	ds_write_b64 v74, v[26:27] offset:1224
	ds_write_b64 v237, v[28:29] offset:408
	ds_write_b64 v74, v[30:31] offset:1360
	ds_write_b64 v237, v[32:33] offset:544
	ds_write_b64 v74, v[34:35] offset:1496
	ds_write_b64 v237, v[36:37] offset:680
	ds_write_b64 v74, v[38:39] offset:1632
	ds_write_b64 v237, v[40:41] offset:816
	ds_write_b64 v74, v[42:43] offset:1768
	s_waitcnt lgkmcnt(0)
	; wave barrier
	s_waitcnt lgkmcnt(0)
	s_and_saveexec_b64 s[4:5], vcc
	s_cbranch_execz .LBB0_9
; %bb.8:
	global_load_dwordx2 v[96:97], v184, s[8:9] offset:1904
	s_add_u32 s6, s8, 0x770
	s_addc_u32 s7, s9, 0
	global_load_dwordx2 v[98:99], v184, s[6:7] offset:112
	global_load_dwordx2 v[100:101], v184, s[6:7] offset:224
	;; [unrolled: 1-line block ×15, first 2 shown]
	ds_read2_b64 v[66:69], v237 offset1:14
	ds_read2_b64 v[70:73], v237 offset0:28 offset1:42
	global_load_dwordx2 v[130:131], v184, s[6:7] offset:1792
	ds_read2_b64 v[76:79], v237 offset0:56 offset1:70
	ds_read2_b64 v[80:83], v237 offset0:84 offset1:98
	;; [unrolled: 1-line block ×5, first 2 shown]
	s_waitcnt vmcnt(14) lgkmcnt(5)
	v_mul_f32_e32 v44, v71, v101
	s_waitcnt vmcnt(13)
	v_mul_f32_e32 v45, v73, v103
	s_waitcnt vmcnt(12) lgkmcnt(4)
	v_mul_f32_e32 v46, v77, v105
	s_waitcnt vmcnt(11)
	v_mul_f32_e32 v47, v79, v107
	;; [unrolled: 4-line block ×5, first 2 shown]
	v_mul_f32_e32 v0, v67, v97
	v_mul_f32_e32 v133, v66, v97
	v_fma_f32 v132, v66, v96, -v0
	v_fmac_f32_e32 v133, v67, v96
	v_mul_f32_e32 v0, v69, v99
	v_mul_f32_e32 v67, v68, v99
	;; [unrolled: 1-line block ×12, first 2 shown]
	v_fma_f32 v66, v68, v98, -v0
	v_fmac_f32_e32 v67, v69, v98
	v_fma_f32 v96, v70, v100, -v44
	v_fmac_f32_e32 v97, v71, v100
	;; [unrolled: 2-line block ×11, first 2 shown]
	ds_write2_b64 v237, v[132:133], v[66:67] offset1:14
	ds_write2_b64 v237, v[96:97], v[98:99] offset0:28 offset1:42
	ds_write2_b64 v237, v[100:101], v[102:103] offset0:56 offset1:70
	;; [unrolled: 1-line block ×5, first 2 shown]
	ds_read2_b64 v[66:69], v237 offset0:196 offset1:210
	s_waitcnt vmcnt(4) lgkmcnt(7)
	v_mul_f32_e32 v121, v93, v123
	v_mul_f32_e32 v119, v92, v123
	s_waitcnt vmcnt(3)
	v_mul_f32_e32 v123, v95, v125
	v_mul_f32_e32 v71, v94, v125
	v_fma_f32 v118, v92, v122, -v121
	v_fmac_f32_e32 v119, v93, v122
	v_fma_f32 v70, v94, v124, -v123
	v_fmac_f32_e32 v71, v95, v124
	ds_write2_b64 v237, v[118:119], v[70:71] offset0:168 offset1:182
	s_waitcnt vmcnt(2) lgkmcnt(1)
	v_mul_f32_e32 v0, v67, v127
	v_mul_f32_e32 v71, v66, v127
	v_fma_f32 v70, v66, v126, -v0
	v_fmac_f32_e32 v71, v67, v126
	ds_read_b64 v[66:67], v237 offset:1792
	s_waitcnt vmcnt(1)
	v_mul_f32_e32 v0, v69, v129
	v_mul_f32_e32 v73, v68, v129
	v_fma_f32 v72, v68, v128, -v0
	v_fmac_f32_e32 v73, v69, v128
	s_waitcnt vmcnt(0) lgkmcnt(0)
	v_mul_f32_e32 v0, v67, v131
	v_mul_f32_e32 v69, v66, v131
	v_fma_f32 v68, v66, v130, -v0
	v_fmac_f32_e32 v69, v67, v130
	ds_write2_b64 v237, v[70:71], v[72:73] offset0:196 offset1:210
	ds_write_b64 v237, v[68:69] offset:1792
.LBB0_9:
	s_or_b64 exec, exec, s[4:5]
	v_mov_b32_e32 v0, v49
	s_waitcnt lgkmcnt(0)
	; wave barrier
	s_waitcnt lgkmcnt(0)
	s_and_saveexec_b64 s[4:5], vcc
	s_cbranch_execz .LBB0_11
; %bb.10:
	ds_read2_b64 v[16:19], v237 offset1:14
	ds_read2_b64 v[20:23], v237 offset0:28 offset1:42
	ds_read2_b64 v[24:27], v237 offset0:56 offset1:70
	ds_read2_b64 v[28:31], v237 offset0:84 offset1:98
	ds_read2_b64 v[32:35], v237 offset0:112 offset1:126
	ds_read2_b64 v[36:39], v237 offset0:140 offset1:154
	ds_read2_b64 v[40:43], v237 offset0:168 offset1:182
	ds_read2_b64 v[12:15], v237 offset0:196 offset1:210
	ds_read_b64 v[58:59], v237 offset:1792
.LBB0_11:
	s_or_b64 exec, exec, s[4:5]
	v_mov_b32_e32 v94, v64
	v_mov_b32_e32 v95, v64
	v_mov_b32_e32 v64, v65
	v_mov_b32_e32 v92, v60
	v_mov_b32_e32 v93, v60
	v_mov_b32_e32 v60, v61
	v_mov_b32_e32 v90, v56
	v_mov_b32_e32 v91, v56
	v_mov_b32_e32 v56, v57
	v_mov_b32_e32 v88, v52
	v_mov_b32_e32 v89, v52
	v_mov_b32_e32 v52, v53
	v_add_u32_e32 v86, 0x110, v74
	v_add_u32_e32 v85, 0x198, v74
	;; [unrolled: 1-line block ×5, first 2 shown]
	s_waitcnt lgkmcnt(0)
	; wave barrier
	s_waitcnt lgkmcnt(0)
	s_and_saveexec_b64 s[4:5], vcc
	s_cbranch_execz .LBB0_13
; %bb.12:
	v_pk_add_f32 v[74:75], v[18:19], v[16:17]
	v_pk_add_f32 v[168:169], v[18:19], v[58:59] neg_lo:[0,1] neg_hi:[0,1]
	v_pk_add_f32 v[74:75], v[20:21], v[74:75]
	s_mov_b32 s26, 0xbeb8f4ab
	v_pk_add_f32 v[74:75], v[22:23], v[74:75]
	v_pk_add_f32 v[164:165], v[58:59], v[18:19]
	;; [unrolled: 1-line block ×3, first 2 shown]
	v_pk_add_f32 v[166:167], v[20:21], v[14:15] neg_lo:[0,1] neg_hi:[0,1]
	v_pk_add_f32 v[74:75], v[26:27], v[74:75]
	v_pk_add_f32 v[162:163], v[14:15], v[20:21]
	;; [unrolled: 1-line block ×3, first 2 shown]
	s_mov_b32 s16, 0x3f6eb680
	v_pk_add_f32 v[74:75], v[30:31], v[74:75]
	s_mov_b32 s42, 0xbf2c7751
	v_pk_add_f32 v[74:75], v[32:33], v[74:75]
	v_pk_add_f32 v[160:161], v[22:23], v[12:13] neg_lo:[0,1] neg_hi:[0,1]
	v_pk_add_f32 v[74:75], v[34:35], v[74:75]
	v_pk_add_f32 v[158:159], v[12:13], v[22:23]
	;; [unrolled: 1-line block ×3, first 2 shown]
	s_mov_b32 s14, 0x3f3d2fb0
	v_pk_add_f32 v[74:75], v[38:39], v[74:75]
	v_pk_mul_f32 v[20:21], v[166:167], s[42:43] op_sel_hi:[1,0]
	v_pk_add_f32 v[74:75], v[40:41], v[74:75]
	v_pk_add_f32 v[150:151], v[42:43], v[24:25]
	v_pk_add_f32 v[74:75], v[42:43], v[74:75]
	s_mov_b32 s48, 0xbf65296c
	v_pk_add_f32 v[74:75], v[12:13], v[74:75]
	v_pk_add_f32 v[120:121], v[26:27], v[40:41] neg_lo:[0,1] neg_hi:[0,1]
	v_pk_add_f32 v[74:75], v[14:15], v[74:75]
	v_pk_mul_f32 v[14:15], v[168:169], s[26:27] op_sel_hi:[1,0]
	v_pk_add_f32 v[44:45], v[58:59], v[74:75]
	v_pk_fma_f32 v[18:19], v[164:165], s[16:17], v[14:15] op_sel:[0,0,1] op_sel_hi:[1,0,0]
	v_pk_fma_f32 v[12:13], v[164:165], s[16:17], v[14:15] op_sel:[0,0,1] op_sel_hi:[1,0,0] neg_lo:[0,0,1] neg_hi:[0,0,1]
	v_pk_add_f32 v[74:75], v[24:25], v[42:43] neg_lo:[0,1] neg_hi:[0,1]
	v_accvgpr_write_b32 a13, v19
	v_mov_b32_e32 v19, v13
	v_accvgpr_write_b32 a12, v12
	v_pk_fma_f32 v[24:25], v[162:163], s[14:15], v[20:21] op_sel:[0,0,1] op_sel_hi:[1,0,0]
	v_pk_fma_f32 v[12:13], v[162:163], s[14:15], v[20:21] op_sel:[0,0,1] op_sel_hi:[1,0,0] neg_lo:[0,0,1] neg_hi:[0,0,1]
	v_pk_add_f32 v[22:23], v[16:17], v[18:19]
	v_accvgpr_write_b32 a15, v25
	v_mov_b32_e32 v25, v13
	v_pk_add_f32 v[142:143], v[40:41], v[26:27]
	v_pk_add_f32 v[26:27], v[24:25], v[22:23]
	s_mov_b32 s10, 0x3ee437d1
	v_pk_mul_f32 v[24:25], v[160:161], s[48:49] op_sel_hi:[1,0]
	v_pk_add_f32 v[128:129], v[28:29], v[38:39] neg_lo:[0,1] neg_hi:[0,1]
	v_pk_add_f32 v[134:135], v[38:39], v[28:29]
	v_accvgpr_write_b32 a14, v12
	v_pk_fma_f32 v[28:29], v[158:159], s[10:11], v[24:25] op_sel:[0,0,1] op_sel_hi:[1,0,0]
	v_pk_fma_f32 v[12:13], v[158:159], s[10:11], v[24:25] op_sel:[0,0,1] op_sel_hi:[1,0,0] neg_lo:[0,0,1] neg_hi:[0,0,1]
	v_accvgpr_write_b32 a17, v29
	v_mov_b32_e32 v29, v13
	s_mov_b32 s38, 0xbf7ee86f
	v_pk_add_f32 v[50:51], v[30:31], v[36:37] neg_lo:[0,1] neg_hi:[0,1]
	v_pk_add_f32 v[126:127], v[36:37], v[30:31]
	v_pk_add_f32 v[30:31], v[28:29], v[26:27]
	s_mov_b32 s6, 0x3dbcf732
	v_pk_mul_f32 v[28:29], v[74:75], s[38:39] op_sel_hi:[1,0]
	v_pk_add_f32 v[156:157], v[32:33], v[34:35] neg_lo:[0,1] neg_hi:[0,1]
	v_pk_add_f32 v[118:119], v[34:35], v[32:33]
	v_accvgpr_write_b32 a16, v12
	v_pk_fma_f32 v[32:33], v[150:151], s[6:7], v[28:29] op_sel:[0,0,1] op_sel_hi:[1,0,0]
	v_pk_fma_f32 v[12:13], v[150:151], s[6:7], v[28:29] op_sel:[0,0,1] op_sel_hi:[1,0,0] neg_lo:[0,0,1] neg_hi:[0,0,1]
	v_accvgpr_write_b32 a19, v33
	v_mov_b32_e32 v33, v13
	s_mov_b32 s20, 0xbf763a35
	v_pk_add_f32 v[34:35], v[32:33], v[30:31]
	s_mov_b32 s18, 0xbe8c1d8e
	v_pk_mul_f32 v[32:33], v[120:121], s[20:21] op_sel_hi:[1,0]
	v_accvgpr_write_b32 a18, v12
	v_pk_fma_f32 v[36:37], v[142:143], s[18:19], v[32:33] op_sel:[0,0,1] op_sel_hi:[1,0,0]
	v_pk_fma_f32 v[12:13], v[142:143], s[18:19], v[32:33] op_sel:[0,0,1] op_sel_hi:[1,0,0] neg_lo:[0,0,1] neg_hi:[0,0,1]
	v_accvgpr_write_b32 a21, v37
	v_mov_b32_e32 v37, v13
	s_mov_b32 s24, 0xbf4c4adb
	v_pk_add_f32 v[38:39], v[36:37], v[34:35]
	s_mov_b32 s22, 0xbf1a4643
	v_pk_mul_f32 v[36:37], v[128:129], s[24:25] op_sel_hi:[1,0]
	s_mov_b32 s30, 0xbf06c442
	v_pk_fma_f32 v[40:41], v[134:135], s[22:23], v[36:37] op_sel:[0,0,1] op_sel_hi:[1,0,0]
	v_pk_fma_f32 v[36:37], v[134:135], s[22:23], v[36:37] op_sel:[0,0,1] op_sel_hi:[1,0,0] neg_lo:[0,0,1] neg_hi:[0,0,1]
	v_accvgpr_write_b32 a23, v41
	v_mov_b32_e32 v41, v37
	v_pk_add_f32 v[42:43], v[40:41], v[38:39]
	s_mov_b32 s28, 0xbf59a7d5
	v_pk_mul_f32 v[40:41], v[50:51], s[30:31] op_sel_hi:[1,0]
	s_mov_b32 s36, 0xbe3c28d5
	v_pk_fma_f32 v[58:59], v[126:127], s[28:29], v[40:41] op_sel:[0,0,1] op_sel_hi:[1,0,0]
	v_pk_fma_f32 v[40:41], v[126:127], s[28:29], v[40:41] op_sel:[0,0,1] op_sel_hi:[1,0,0] neg_lo:[0,0,1] neg_hi:[0,0,1]
	v_accvgpr_write_b32 a25, v59
	v_mov_b32_e32 v59, v41
	v_pk_add_f32 v[76:77], v[58:59], v[42:43]
	s_mov_b32 s34, 0xbf7ba420
	v_pk_mul_f32 v[58:59], v[156:157], s[36:37] op_sel_hi:[1,0]
	v_lshl_add_u32 v46, v116, 3, v176
	v_pk_fma_f32 v[78:79], v[118:119], s[34:35], v[58:59] op_sel:[0,0,1] op_sel_hi:[1,0,0]
	v_pk_fma_f32 v[58:59], v[118:119], s[34:35], v[58:59] op_sel:[0,0,1] op_sel_hi:[1,0,0] neg_lo:[0,0,1] neg_hi:[0,0,1]
	v_accvgpr_write_b32 a27, v79
	v_mov_b32_e32 v79, v59
	v_pk_add_f32 v[76:77], v[78:79], v[76:77]
	ds_write2_b64 v46, v[44:45], v[76:77] offset1:1
	v_pk_mul_f32 v[76:77], v[168:169], s[42:43] op_sel_hi:[1,0]
	v_pk_mul_f32 v[80:81], v[166:167], s[38:39] op_sel_hi:[1,0]
	v_pk_fma_f32 v[78:79], v[164:165], s[14:15], v[76:77] op_sel:[0,0,1] op_sel_hi:[1,0,0]
	v_pk_fma_f32 v[76:77], v[164:165], s[14:15], v[76:77] op_sel:[0,0,1] op_sel_hi:[1,0,0] neg_lo:[0,0,1] neg_hi:[0,0,1]
	v_accvgpr_write_b32 a29, v79
	v_mov_b32_e32 v79, v77
	v_pk_fma_f32 v[14:15], v[162:163], s[6:7], v[80:81] op_sel:[0,0,1] op_sel_hi:[1,0,0]
	v_pk_fma_f32 v[80:81], v[162:163], s[6:7], v[80:81] op_sel:[0,0,1] op_sel_hi:[1,0,0] neg_lo:[0,0,1] neg_hi:[0,0,1]
	v_mov_b32_e32 v13, v82
	v_mov_b32_e32 v59, v83
	v_pk_add_f32 v[82:83], v[16:17], v[78:79]
	v_accvgpr_write_b32 a2, v84
	v_mov_b32_e32 v84, v14
	v_accvgpr_write_b32 a3, v85
	v_mov_b32_e32 v85, v81
	;; [unrolled: 2-line block ×3, first 2 shown]
	v_pk_add_f32 v[86:87], v[84:85], v[82:83]
	v_pk_mul_f32 v[84:85], v[160:161], s[24:25] op_sel_hi:[1,0]
	v_accvgpr_write_b32 a31, v15
	v_pk_fma_f32 v[14:15], v[158:159], s[22:23], v[84:85] op_sel:[0,0,1] op_sel_hi:[1,0,0]
	v_pk_fma_f32 v[84:85], v[158:159], s[22:23], v[84:85] op_sel:[0,0,1] op_sel_hi:[1,0,0] neg_lo:[0,0,1] neg_hi:[0,0,1]
	v_accvgpr_write_b32 a4, v88
	v_accvgpr_write_b32 a5, v89
	v_mov_b32_e32 v88, v14
	v_mov_b32_e32 v89, v85
	v_accvgpr_write_b32 a6, v90
	v_accvgpr_write_b32 a7, v91
	v_pk_add_f32 v[90:91], v[88:89], v[86:87]
	v_pk_mul_f32 v[88:89], v[74:75], s[36:37] op_sel_hi:[1,0]
	v_accvgpr_write_b32 a33, v15
	v_pk_fma_f32 v[14:15], v[150:151], s[34:35], v[88:89] op_sel:[0,0,1] op_sel_hi:[1,0,0]
	v_pk_fma_f32 v[88:89], v[150:151], s[34:35], v[88:89] op_sel:[0,0,1] op_sel_hi:[1,0,0] neg_lo:[0,0,1] neg_hi:[0,0,1]
	v_accvgpr_write_b32 a8, v92
	v_accvgpr_write_b32 a9, v93
	v_mov_b32_e32 v92, v14
	v_mov_b32_e32 v93, v89
	v_accvgpr_write_b32 a10, v94
	s_mov_b32 s54, 0x3f06c442
	v_accvgpr_write_b32 a11, v95
	v_pk_add_f32 v[94:95], v[92:93], v[90:91]
	v_pk_mul_f32 v[92:93], v[120:121], s[54:55] op_sel_hi:[1,0]
	s_mov_b32 s50, 0x3f763a35
	v_pk_fma_f32 v[96:97], v[142:143], s[28:29], v[92:93] op_sel:[0,0,1] op_sel_hi:[1,0,0]
	v_pk_fma_f32 v[92:93], v[142:143], s[28:29], v[92:93] op_sel:[0,0,1] op_sel_hi:[1,0,0] neg_lo:[0,0,1] neg_hi:[0,0,1]
	v_accvgpr_write_b32 a37, v97
	v_mov_b32_e32 v97, v93
	v_pk_add_f32 v[98:99], v[96:97], v[94:95]
	v_pk_mul_f32 v[96:97], v[128:129], s[50:51] op_sel_hi:[1,0]
	s_mov_b32 s40, 0x3f65296c
	v_pk_fma_f32 v[100:101], v[134:135], s[18:19], v[96:97] op_sel:[0,0,1] op_sel_hi:[1,0,0]
	v_pk_fma_f32 v[96:97], v[134:135], s[18:19], v[96:97] op_sel:[0,0,1] op_sel_hi:[1,0,0] neg_lo:[0,0,1] neg_hi:[0,0,1]
	v_accvgpr_write_b32 a39, v101
	v_mov_b32_e32 v101, v97
	v_mov_b64_e32 v[24:25], v[50:51]
	v_pk_add_f32 v[102:103], v[100:101], v[98:99]
	v_pk_mul_f32 v[100:101], v[24:25], s[40:41] op_sel_hi:[1,0]
	s_mov_b32 s44, 0x3eb8f4ab
	v_pk_fma_f32 v[98:99], v[126:127], s[10:11], v[100:101] op_sel:[0,0,1] op_sel_hi:[1,0,0]
	v_pk_fma_f32 v[100:101], v[126:127], s[10:11], v[100:101] op_sel:[0,0,1] op_sel_hi:[1,0,0] neg_lo:[0,0,1] neg_hi:[0,0,1]
	v_mov_b32_e32 v104, v98
	v_mov_b32_e32 v105, v101
	v_pk_add_f32 v[106:107], v[104:105], v[102:103]
	v_pk_mul_f32 v[104:105], v[156:157], s[44:45] op_sel_hi:[1,0]
	v_pk_mul_f32 v[112:113], v[166:167], s[24:25] op_sel_hi:[1,0]
	v_pk_fma_f32 v[102:103], v[118:119], s[16:17], v[104:105] op_sel:[0,0,1] op_sel_hi:[1,0,0]
	v_pk_fma_f32 v[104:105], v[118:119], s[16:17], v[104:105] op_sel:[0,0,1] op_sel_hi:[1,0,0] neg_lo:[0,0,1] neg_hi:[0,0,1]
	v_mov_b32_e32 v108, v102
	v_mov_b32_e32 v109, v105
	v_pk_add_f32 v[170:171], v[108:109], v[106:107]
	v_pk_mul_f32 v[108:109], v[168:169], s[48:49] op_sel_hi:[1,0]
	s_mov_b32 s46, 0x3e3c28d5
	v_pk_fma_f32 v[106:107], v[164:165], s[10:11], v[108:109] op_sel:[0,0,1] op_sel_hi:[1,0,0]
	v_pk_fma_f32 v[108:109], v[164:165], s[10:11], v[108:109] op_sel:[0,0,1] op_sel_hi:[1,0,0] neg_lo:[0,0,1] neg_hi:[0,0,1]
	v_mov_b32_e32 v110, v106
	v_mov_b32_e32 v111, v109
	v_pk_add_f32 v[114:115], v[16:17], v[110:111]
	v_pk_fma_f32 v[110:111], v[162:163], s[22:23], v[112:113] op_sel:[0,0,1] op_sel_hi:[1,0,0]
	v_pk_fma_f32 v[112:113], v[162:163], s[22:23], v[112:113] op_sel:[0,0,1] op_sel_hi:[1,0,0] neg_lo:[0,0,1] neg_hi:[0,0,1]
	v_mov_b32_e32 v116, v110
	v_mov_b32_e32 v117, v113
	v_pk_add_f32 v[122:123], v[116:117], v[114:115]
	v_pk_mul_f32 v[116:117], v[160:161], s[46:47] op_sel_hi:[1,0]
	s_mov_b32 s46, 0x3f2c7751
	v_pk_fma_f32 v[114:115], v[158:159], s[34:35], v[116:117] op_sel:[0,0,1] op_sel_hi:[1,0,0]
	v_pk_fma_f32 v[116:117], v[158:159], s[34:35], v[116:117] op_sel:[0,0,1] op_sel_hi:[1,0,0] neg_lo:[0,0,1] neg_hi:[0,0,1]
	v_mov_b32_e32 v124, v114
	v_mov_b32_e32 v125, v117
	v_pk_add_f32 v[130:131], v[124:125], v[122:123]
	v_pk_mul_f32 v[124:125], v[74:75], s[50:51] op_sel_hi:[1,0]
	v_mov_b32_e32 v81, v177
	v_pk_fma_f32 v[122:123], v[150:151], s[18:19], v[124:125] op_sel:[0,0,1] op_sel_hi:[1,0,0]
	v_pk_fma_f32 v[124:125], v[150:151], s[18:19], v[124:125] op_sel:[0,0,1] op_sel_hi:[1,0,0] neg_lo:[0,0,1] neg_hi:[0,0,1]
	v_mov_b32_e32 v132, v122
	v_mov_b32_e32 v133, v125
	v_pk_add_f32 v[138:139], v[132:133], v[130:131]
	v_pk_mul_f32 v[132:133], v[120:121], s[46:47] op_sel_hi:[1,0]
	v_pk_mul_f32 v[176:177], v[166:167], s[36:37] op_sel_hi:[1,0]
	v_pk_fma_f32 v[130:131], v[142:143], s[14:15], v[132:133] op_sel:[0,0,1] op_sel_hi:[1,0,0]
	v_pk_fma_f32 v[132:133], v[142:143], s[14:15], v[132:133] op_sel:[0,0,1] op_sel_hi:[1,0,0] neg_lo:[0,0,1] neg_hi:[0,0,1]
	v_mov_b32_e32 v140, v130
	v_mov_b32_e32 v141, v133
	v_pk_add_f32 v[146:147], v[140:141], v[138:139]
	v_pk_mul_f32 v[140:141], v[128:129], s[26:27] op_sel_hi:[1,0]
	v_mov_b32_e32 v37, v184
	v_pk_fma_f32 v[138:139], v[134:135], s[16:17], v[140:141] op_sel:[0,0,1] op_sel_hi:[1,0,0]
	v_pk_fma_f32 v[140:141], v[134:135], s[16:17], v[140:141] op_sel:[0,0,1] op_sel_hi:[1,0,0] neg_lo:[0,0,1] neg_hi:[0,0,1]
	v_mov_b32_e32 v148, v138
	v_mov_b32_e32 v149, v141
	v_pk_add_f32 v[152:153], v[148:149], v[146:147]
	v_pk_mul_f32 v[148:149], v[24:25], s[38:39] op_sel_hi:[1,0]
	v_mov_b32_e32 v41, v185
	v_pk_fma_f32 v[146:147], v[126:127], s[6:7], v[148:149] op_sel:[0,0,1] op_sel_hi:[1,0,0]
	v_pk_fma_f32 v[148:149], v[126:127], s[6:7], v[148:149] op_sel:[0,0,1] op_sel_hi:[1,0,0] neg_lo:[0,0,1] neg_hi:[0,0,1]
	v_mov_b32_e32 v154, v146
	v_mov_b32_e32 v155, v149
	v_pk_add_f32 v[172:173], v[154:155], v[152:153]
	v_pk_mul_f32 v[154:155], v[156:157], s[30:31] op_sel_hi:[1,0]
	v_mov_b32_e32 v98, v186
	v_pk_fma_f32 v[152:153], v[118:119], s[28:29], v[154:155] op_sel:[0,0,1] op_sel_hi:[1,0,0]
	v_pk_fma_f32 v[154:155], v[118:119], s[28:29], v[154:155] op_sel:[0,0,1] op_sel_hi:[1,0,0] neg_lo:[0,0,1] neg_hi:[0,0,1]
	v_mov_b32_e32 v174, v152
	v_mov_b32_e32 v175, v155
	v_pk_add_f32 v[172:173], v[174:175], v[172:173]
	ds_write2_b64 v46, v[170:171], v[172:173] offset0:2 offset1:3
	v_pk_mul_f32 v[172:173], v[168:169], s[38:39] op_sel_hi:[1,0]
	s_mov_b32 s52, 0x3f4c4adb
	v_pk_fma_f32 v[170:171], v[164:165], s[6:7], v[172:173] op_sel:[0,0,1] op_sel_hi:[1,0,0]
	v_pk_fma_f32 v[172:173], v[164:165], s[6:7], v[172:173] op_sel:[0,0,1] op_sel_hi:[1,0,0] neg_lo:[0,0,1] neg_hi:[0,0,1]
	v_mov_b32_e32 v174, v170
	v_mov_b32_e32 v175, v173
	v_pk_add_f32 v[178:179], v[16:17], v[174:175]
	v_pk_fma_f32 v[174:175], v[162:163], s[34:35], v[176:177] op_sel:[0,0,1] op_sel_hi:[1,0,0]
	v_pk_fma_f32 v[176:177], v[162:163], s[34:35], v[176:177] op_sel:[0,0,1] op_sel_hi:[1,0,0] neg_lo:[0,0,1] neg_hi:[0,0,1]
	v_mov_b32_e32 v180, v174
	v_mov_b32_e32 v181, v177
	v_pk_add_f32 v[182:183], v[180:181], v[178:179]
	v_pk_mul_f32 v[180:181], v[160:161], s[50:51] op_sel_hi:[1,0]
	v_pk_mul_f32 v[250:251], v[166:167], s[50:51] op_sel_hi:[1,0]
	v_pk_fma_f32 v[178:179], v[158:159], s[18:19], v[180:181] op_sel:[0,0,1] op_sel_hi:[1,0,0]
	v_pk_fma_f32 v[180:181], v[158:159], s[18:19], v[180:181] op_sel:[0,0,1] op_sel_hi:[1,0,0] neg_lo:[0,0,1] neg_hi:[0,0,1]
	v_mov_b32_e32 v184, v178
	v_mov_b32_e32 v185, v181
	v_pk_add_f32 v[186:187], v[184:185], v[182:183]
	v_pk_mul_f32 v[184:185], v[74:75], s[44:45] op_sel_hi:[1,0]
	v_pk_fma_f32 v[90:91], v[162:163], s[18:19], v[250:251] op_sel:[0,0,1] op_sel_hi:[1,0,0]
	v_pk_fma_f32 v[182:183], v[150:151], s[16:17], v[184:185] op_sel:[0,0,1] op_sel_hi:[1,0,0]
	v_pk_fma_f32 v[184:185], v[150:151], s[16:17], v[184:185] op_sel:[0,0,1] op_sel_hi:[1,0,0] neg_lo:[0,0,1] neg_hi:[0,0,1]
	v_mov_b32_e32 v188, v182
	v_mov_b32_e32 v189, v185
	v_pk_add_f32 v[190:191], v[188:189], v[186:187]
	v_pk_mul_f32 v[188:189], v[120:121], s[48:49] op_sel_hi:[1,0]
	v_pk_fma_f32 v[250:251], v[162:163], s[18:19], v[250:251] op_sel:[0,0,1] op_sel_hi:[1,0,0] neg_lo:[0,0,1] neg_hi:[0,0,1]
	v_pk_fma_f32 v[186:187], v[142:143], s[10:11], v[188:189] op_sel:[0,0,1] op_sel_hi:[1,0,0]
	v_pk_fma_f32 v[188:189], v[142:143], s[10:11], v[188:189] op_sel:[0,0,1] op_sel_hi:[1,0,0] neg_lo:[0,0,1] neg_hi:[0,0,1]
	v_mov_b32_e32 v192, v186
	v_mov_b32_e32 v193, v189
	v_pk_add_f32 v[194:195], v[192:193], v[190:191]
	v_pk_mul_f32 v[192:193], v[128:129], s[30:31] op_sel_hi:[1,0]
	v_mov_b32_e32 v254, v90
	v_pk_fma_f32 v[190:191], v[134:135], s[28:29], v[192:193] op_sel:[0,0,1] op_sel_hi:[1,0,0]
	v_pk_fma_f32 v[192:193], v[134:135], s[28:29], v[192:193] op_sel:[0,0,1] op_sel_hi:[1,0,0] neg_lo:[0,0,1] neg_hi:[0,0,1]
	v_mov_b32_e32 v196, v190
	v_mov_b32_e32 v197, v193
	v_pk_add_f32 v[198:199], v[196:197], v[194:195]
	v_pk_mul_f32 v[196:197], v[24:25], s[52:53] op_sel_hi:[1,0]
	v_mov_b32_e32 v255, v251
	v_pk_fma_f32 v[194:195], v[126:127], s[22:23], v[196:197] op_sel:[0,0,1] op_sel_hi:[1,0,0]
	v_pk_fma_f32 v[196:197], v[126:127], s[22:23], v[196:197] op_sel:[0,0,1] op_sel_hi:[1,0,0] neg_lo:[0,0,1] neg_hi:[0,0,1]
	v_mov_b32_e32 v200, v194
	v_mov_b32_e32 v201, v197
	v_pk_add_f32 v[202:203], v[200:201], v[198:199]
	v_pk_mul_f32 v[200:201], v[156:157], s[46:47] op_sel_hi:[1,0]
	v_pk_mul_f32 v[234:235], v[166:167], s[40:41] op_sel_hi:[1,0]
	v_pk_fma_f32 v[198:199], v[118:119], s[14:15], v[200:201] op_sel:[0,0,1] op_sel_hi:[1,0,0]
	v_pk_fma_f32 v[200:201], v[118:119], s[14:15], v[200:201] op_sel:[0,0,1] op_sel_hi:[1,0,0] neg_lo:[0,0,1] neg_hi:[0,0,1]
	v_mov_b32_e32 v204, v198
	v_mov_b32_e32 v205, v201
	v_pk_add_f32 v[244:245], v[204:205], v[202:203]
	v_pk_mul_f32 v[202:203], v[168:169], s[20:21] op_sel_hi:[1,0]
	v_pk_fma_f32 v[30:31], v[162:163], s[10:11], v[234:235] op_sel:[0,0,1] op_sel_hi:[1,0,0]
	v_pk_fma_f32 v[204:205], v[164:165], s[18:19], v[202:203] op_sel:[0,0,1] op_sel_hi:[1,0,0]
	v_pk_fma_f32 v[202:203], v[164:165], s[18:19], v[202:203] op_sel:[0,0,1] op_sel_hi:[1,0,0] neg_lo:[0,0,1] neg_hi:[0,0,1]
	v_mov_b32_e32 v206, v204
	v_mov_b32_e32 v207, v203
	v_pk_add_f32 v[210:211], v[16:17], v[206:207]
	v_pk_mul_f32 v[206:207], v[166:167], s[54:55] op_sel_hi:[1,0]
	v_pk_fma_f32 v[234:235], v[162:163], s[10:11], v[234:235] op_sel:[0,0,1] op_sel_hi:[1,0,0] neg_lo:[0,0,1] neg_hi:[0,0,1]
	v_pk_fma_f32 v[94:95], v[162:163], s[28:29], v[206:207] op_sel:[0,0,1] op_sel_hi:[1,0,0]
	v_pk_fma_f32 v[206:207], v[162:163], s[28:29], v[206:207] op_sel:[0,0,1] op_sel_hi:[1,0,0] neg_lo:[0,0,1] neg_hi:[0,0,1]
	v_mov_b32_e32 v212, v94
	v_mov_b32_e32 v213, v207
	v_pk_add_f32 v[214:215], v[212:213], v[210:211]
	v_pk_mul_f32 v[212:213], v[160:161], s[46:47] op_sel_hi:[1,0]
	v_mov_b32_e32 v242, v30
	v_pk_fma_f32 v[210:211], v[158:159], s[14:15], v[212:213] op_sel:[0,0,1] op_sel_hi:[1,0,0]
	v_pk_fma_f32 v[212:213], v[158:159], s[14:15], v[212:213] op_sel:[0,0,1] op_sel_hi:[1,0,0] neg_lo:[0,0,1] neg_hi:[0,0,1]
	v_mov_b32_e32 v216, v210
	v_mov_b32_e32 v217, v213
	v_pk_add_f32 v[218:219], v[216:217], v[214:215]
	v_pk_mul_f32 v[216:217], v[74:75], s[48:49] op_sel_hi:[1,0]
	s_mov_b32 s48, 0x3f7ee86f
	v_pk_fma_f32 v[214:215], v[150:151], s[10:11], v[216:217] op_sel:[0,0,1] op_sel_hi:[1,0,0]
	v_pk_fma_f32 v[216:217], v[150:151], s[10:11], v[216:217] op_sel:[0,0,1] op_sel_hi:[1,0,0] neg_lo:[0,0,1] neg_hi:[0,0,1]
	v_mov_b32_e32 v220, v214
	v_mov_b32_e32 v221, v217
	v_pk_add_f32 v[222:223], v[220:221], v[218:219]
	v_pk_mul_f32 v[220:221], v[120:121], s[36:37] op_sel_hi:[1,0]
	v_mov_b32_e32 v243, v235
	v_pk_fma_f32 v[218:219], v[142:143], s[34:35], v[220:221] op_sel:[0,0,1] op_sel_hi:[1,0,0]
	v_pk_fma_f32 v[220:221], v[142:143], s[34:35], v[220:221] op_sel:[0,0,1] op_sel_hi:[1,0,0] neg_lo:[0,0,1] neg_hi:[0,0,1]
	v_mov_b32_e32 v224, v218
	v_mov_b32_e32 v225, v221
	v_pk_add_f32 v[226:227], v[224:225], v[222:223]
	v_pk_mul_f32 v[224:225], v[128:129], s[48:49] op_sel_hi:[1,0]
	v_accvgpr_write_b32 a35, v15
	v_pk_fma_f32 v[222:223], v[134:135], s[6:7], v[224:225] op_sel:[0,0,1] op_sel_hi:[1,0,0]
	v_pk_fma_f32 v[224:225], v[134:135], s[6:7], v[224:225] op_sel:[0,0,1] op_sel_hi:[1,0,0] neg_lo:[0,0,1] neg_hi:[0,0,1]
	v_mov_b32_e32 v228, v222
	v_mov_b32_e32 v229, v225
	v_pk_add_f32 v[230:231], v[228:229], v[226:227]
	v_pk_mul_f32 v[228:229], v[24:25], s[26:27] op_sel_hi:[1,0]
	v_mov_b32_e32 v77, v46
	v_pk_fma_f32 v[226:227], v[126:127], s[16:17], v[228:229] op_sel:[0,0,1] op_sel_hi:[1,0,0]
	v_pk_fma_f32 v[228:229], v[126:127], s[16:17], v[228:229] op_sel:[0,0,1] op_sel_hi:[1,0,0] neg_lo:[0,0,1] neg_hi:[0,0,1]
	v_mov_b32_e32 v232, v226
	v_mov_b32_e32 v233, v229
	v_pk_add_f32 v[246:247], v[232:233], v[230:231]
	v_pk_mul_f32 v[232:233], v[156:157], s[24:25] op_sel_hi:[1,0]
	v_accvgpr_write_b32 a0, v136
	v_pk_fma_f32 v[230:231], v[118:119], s[22:23], v[232:233] op_sel:[0,0,1] op_sel_hi:[1,0,0]
	v_pk_fma_f32 v[232:233], v[118:119], s[22:23], v[232:233] op_sel:[0,0,1] op_sel_hi:[1,0,0] neg_lo:[0,0,1] neg_hi:[0,0,1]
	v_mov_b32_e32 v248, v230
	v_mov_b32_e32 v249, v233
	v_pk_add_f32 v[246:247], v[248:249], v[246:247]
	ds_write2_b64 v46, v[244:245], v[246:247] offset0:4 offset1:5
	v_pk_mul_f32 v[244:245], v[168:169], s[24:25] op_sel_hi:[1,0]
	v_accvgpr_write_b32 a1, v137
	v_pk_fma_f32 v[246:247], v[164:165], s[22:23], v[244:245] op_sel:[0,0,1] op_sel_hi:[1,0,0]
	v_pk_fma_f32 v[244:245], v[164:165], s[22:23], v[244:245] op_sel:[0,0,1] op_sel_hi:[1,0,0] neg_lo:[0,0,1] neg_hi:[0,0,1]
	v_mov_b32_e32 v248, v246
	v_mov_b32_e32 v249, v245
	v_pk_add_f32 v[248:249], v[16:17], v[248:249]
	v_mov_b32_e32 v245, v247
	v_pk_add_f32 v[248:249], v[254:255], v[248:249]
	v_pk_mul_f32 v[254:255], v[160:161], s[26:27] op_sel_hi:[1,0]
	v_mov_b32_e32 v235, v31
	v_pk_fma_f32 v[86:87], v[158:159], s[16:17], v[254:255] op_sel:[0,0,1] op_sel_hi:[1,0,0]
	v_pk_fma_f32 v[254:255], v[158:159], s[16:17], v[254:255] op_sel:[0,0,1] op_sel_hi:[1,0,0] neg_lo:[0,0,1] neg_hi:[0,0,1]
	v_mov_b32_e32 v238, v86
	v_mov_b32_e32 v239, v255
	v_pk_add_f32 v[238:239], v[238:239], v[248:249]
	v_pk_mul_f32 v[248:249], v[74:75], s[30:31] op_sel_hi:[1,0]
	v_mov_b32_e32 v86, v12
	v_pk_fma_f32 v[82:83], v[150:151], s[28:29], v[248:249] op_sel:[0,0,1] op_sel_hi:[1,0,0]
	v_pk_fma_f32 v[248:249], v[150:151], s[28:29], v[248:249] op_sel:[0,0,1] op_sel_hi:[1,0,0] neg_lo:[0,0,1] neg_hi:[0,0,1]
	v_mov_b32_e32 v12, v82
	v_mov_b32_e32 v82, v13
	;; [unrolled: 1-line block ×3, first 2 shown]
	v_pk_add_f32 v[12:13], v[12:13], v[238:239]
	v_pk_mul_f32 v[238:239], v[120:121], s[48:49] op_sel_hi:[1,0]
	v_mov_b32_e32 v251, v91
	v_pk_fma_f32 v[78:79], v[142:143], s[6:7], v[238:239] op_sel:[0,0,1] op_sel_hi:[1,0,0]
	v_pk_fma_f32 v[238:239], v[142:143], s[6:7], v[238:239] op_sel:[0,0,1] op_sel_hi:[1,0,0] neg_lo:[0,0,1] neg_hi:[0,0,1]
	v_mov_b32_e32 v18, v78
	v_mov_b32_e32 v19, v239
	v_pk_add_f32 v[12:13], v[18:19], v[12:13]
	v_pk_mul_f32 v[18:19], v[128:129], s[42:43] op_sel_hi:[1,0]
	v_mov_b32_e32 v255, v87
	v_pk_fma_f32 v[42:43], v[134:135], s[14:15], v[18:19] op_sel:[0,0,1] op_sel_hi:[1,0,0]
	v_pk_fma_f32 v[18:19], v[134:135], s[14:15], v[18:19] op_sel:[0,0,1] op_sel_hi:[1,0,0] neg_lo:[0,0,1] neg_hi:[0,0,1]
	v_mov_b32_e32 v22, v42
	v_mov_b32_e32 v23, v19
	;; [unrolled: 7-line block ×5, first 2 shown]
	v_pk_add_f32 v[252:253], v[16:17], v[252:253]
	v_mov_b32_e32 v45, v33
	v_pk_add_f32 v[242:243], v[242:243], v[252:253]
	v_pk_mul_f32 v[252:253], v[160:161], s[38:39] op_sel_hi:[1,0]
	v_pk_mul_f32 v[160:161], v[160:161], s[30:31] op_sel_hi:[1,0]
	v_pk_fma_f32 v[28:29], v[158:159], s[6:7], v[252:253] op_sel:[0,0,1] op_sel_hi:[1,0,0]
	v_pk_fma_f32 v[252:253], v[158:159], s[6:7], v[252:253] op_sel:[0,0,1] op_sel_hi:[1,0,0] neg_lo:[0,0,1] neg_hi:[0,0,1]
	v_mov_b32_e32 v14, v28
	v_mov_b32_e32 v15, v253
	v_pk_add_f32 v[14:15], v[14:15], v[242:243]
	v_pk_mul_f32 v[242:243], v[74:75], s[52:53] op_sel_hi:[1,0]
	v_pk_mul_f32 v[74:75], v[74:75], s[46:47] op_sel_hi:[1,0]
	v_pk_fma_f32 v[66:67], v[150:151], s[22:23], v[242:243] op_sel:[0,0,1] op_sel_hi:[1,0,0]
	v_pk_fma_f32 v[242:243], v[150:151], s[22:23], v[242:243] op_sel:[0,0,1] op_sel_hi:[1,0,0] neg_lo:[0,0,1] neg_hi:[0,0,1]
	v_mov_b32_e32 v46, v66
	;; [unrolled: 7-line block ×4, first 2 shown]
	v_mov_b32_e32 v73, v69
	v_pk_add_f32 v[14:15], v[72:73], v[14:15]
	v_pk_mul_f32 v[72:73], v[24:25], s[46:47] op_sel_hi:[1,0]
	v_mov_b32_e32 v253, v29
	v_pk_fma_f32 v[136:137], v[126:127], s[14:15], v[72:73] op_sel:[0,0,1] op_sel_hi:[1,0,0]
	v_pk_fma_f32 v[72:73], v[126:127], s[14:15], v[72:73] op_sel:[0,0,1] op_sel_hi:[1,0,0] neg_lo:[0,0,1] neg_hi:[0,0,1]
	v_mov_b32_e32 v50, v136
	v_mov_b32_e32 v51, v73
	v_pk_add_f32 v[14:15], v[50:51], v[14:15]
	v_pk_mul_f32 v[50:51], v[156:157], s[20:21] op_sel_hi:[1,0]
	v_mov_b32_e32 v243, v67
	v_pk_fma_f32 v[144:145], v[118:119], s[18:19], v[50:51] op_sel:[0,0,1] op_sel_hi:[1,0,0]
	v_pk_fma_f32 v[50:51], v[118:119], s[18:19], v[50:51] op_sel:[0,0,1] op_sel_hi:[1,0,0] neg_lo:[0,0,1] neg_hi:[0,0,1]
	v_mov_b32_e32 v240, v144
	v_mov_b32_e32 v241, v51
	v_pk_add_f32 v[14:15], v[240:241], v[14:15]
	ds_write2_b64 v77, v[12:13], v[14:15] offset0:6 offset1:7
	v_pk_mul_f32 v[12:13], v[168:169], s[36:37] op_sel_hi:[1,0]
	v_mov_b32_e32 v47, v71
	v_pk_fma_f32 v[14:15], v[164:165], s[34:35], v[12:13] op_sel:[0,0,1] op_sel_hi:[1,0,0]
	v_pk_fma_f32 v[12:13], v[164:165], s[34:35], v[12:13] op_sel:[0,0,1] op_sel_hi:[1,0,0] neg_lo:[0,0,1] neg_hi:[0,0,1]
	v_pk_mul_f32 v[164:165], v[166:167], s[44:45] op_sel_hi:[1,0]
	v_mov_b32_e32 v69, v21
	v_pk_fma_f32 v[166:167], v[162:163], s[16:17], v[164:165] op_sel:[0,0,1] op_sel_hi:[1,0,0]
	v_pk_fma_f32 v[162:163], v[162:163], s[16:17], v[164:165] op_sel:[0,0,1] op_sel_hi:[1,0,0] neg_lo:[0,0,1] neg_hi:[0,0,1]
	v_mov_b32_e32 v164, v14
	v_mov_b32_e32 v165, v13
	v_pk_add_f32 v[164:165], v[16:17], v[164:165]
	v_mov_b32_e32 v168, v166
	v_mov_b32_e32 v169, v163
	v_pk_add_f32 v[164:165], v[168:169], v[164:165]
	v_pk_fma_f32 v[168:169], v[158:159], s[28:29], v[160:161] op_sel:[0,0,1] op_sel_hi:[1,0,0]
	v_pk_fma_f32 v[158:159], v[158:159], s[28:29], v[160:161] op_sel:[0,0,1] op_sel_hi:[1,0,0] neg_lo:[0,0,1] neg_hi:[0,0,1]
	v_mov_b32_e32 v160, v168
	v_mov_b32_e32 v161, v159
	v_pk_add_f32 v[160:161], v[160:161], v[164:165]
	v_pk_fma_f32 v[164:165], v[150:151], s[14:15], v[74:75] op_sel:[0,0,1] op_sel_hi:[1,0,0]
	v_pk_fma_f32 v[74:75], v[150:151], s[14:15], v[74:75] op_sel:[0,0,1] op_sel_hi:[1,0,0] neg_lo:[0,0,1] neg_hi:[0,0,1]
	;; [unrolled: 5-line block ×4, first 2 shown]
	v_mov_b32_e32 v13, v15
	v_mov_b32_e32 v134, v150
	;; [unrolled: 1-line block ×4, first 2 shown]
	v_pk_add_f32 v[12:13], v[16:17], v[12:13]
	v_pk_add_f32 v[134:135], v[134:135], v[142:143]
	v_pk_mul_f32 v[142:143], v[24:25], s[20:21] op_sel_hi:[1,0]
	v_pk_add_f32 v[12:13], v[162:163], v[12:13]
	v_mov_b32_e32 v159, v169
	v_pk_fma_f32 v[240:241], v[126:127], s[18:19], v[142:143] op_sel:[0,0,1] op_sel_hi:[1,0,0]
	v_pk_fma_f32 v[126:127], v[126:127], s[18:19], v[142:143] op_sel:[0,0,1] op_sel_hi:[1,0,0] neg_lo:[0,0,1] neg_hi:[0,0,1]
	v_pk_add_f32 v[12:13], v[158:159], v[12:13]
	v_mov_b32_e32 v75, v165
	v_mov_b32_e32 v142, v240
	v_mov_b32_e32 v143, v127
	v_pk_add_f32 v[12:13], v[74:75], v[12:13]
	v_mov_b32_e32 v121, v161
	v_pk_add_f32 v[134:135], v[142:143], v[134:135]
	v_pk_mul_f32 v[142:143], v[156:157], s[48:49] op_sel_hi:[1,0]
	v_pk_add_f32 v[12:13], v[120:121], v[12:13]
	v_mov_b32_e32 v129, v151
	v_pk_fma_f32 v[156:157], v[118:119], s[6:7], v[142:143] op_sel:[0,0,1] op_sel_hi:[1,0,0]
	v_pk_fma_f32 v[118:119], v[118:119], s[6:7], v[142:143] op_sel:[0,0,1] op_sel_hi:[1,0,0] neg_lo:[0,0,1] neg_hi:[0,0,1]
	v_pk_add_f32 v[12:13], v[128:129], v[12:13]
	v_mov_b32_e32 v127, v241
	v_mov_b32_e32 v142, v156
	;; [unrolled: 1-line block ×3, first 2 shown]
	v_pk_add_f32 v[12:13], v[126:127], v[12:13]
	v_mov_b32_e32 v119, v157
	v_pk_add_f32 v[134:135], v[142:143], v[134:135]
	v_pk_add_f32 v[12:13], v[118:119], v[12:13]
	ds_write2_b64 v77, v[134:135], v[12:13] offset0:8 offset1:9
	v_pk_add_f32 v[12:13], v[16:17], v[44:45]
	v_pk_add_f32 v[14:15], v[16:17], v[244:245]
	;; [unrolled: 1-line block ×11, first 2 shown]
	v_mov_b32_e32 v73, v137
	v_pk_add_f32 v[14:15], v[18:19], v[14:15]
	v_mov_b32_e32 v23, v39
	v_pk_add_f32 v[12:13], v[72:73], v[12:13]
	v_mov_b32_e32 v51, v145
	v_pk_add_f32 v[14:15], v[22:23], v[14:15]
	v_mov_b32_e32 v27, v35
	v_pk_add_f32 v[12:13], v[50:51], v[12:13]
	v_pk_add_f32 v[14:15], v[26:27], v[14:15]
	v_mov_b32_e32 v203, v205
	v_mov_b32_e32 v173, v171
	ds_write2_b64 v77, v[12:13], v[14:15] offset0:10 offset1:11
	v_mov_b32_e32 v207, v95
	v_pk_add_f32 v[12:13], v[16:17], v[202:203]
	v_pk_add_f32 v[14:15], v[16:17], v[172:173]
	v_mov_b32_e32 v177, v175
	v_pk_add_f32 v[12:13], v[206:207], v[12:13]
	v_mov_b32_e32 v213, v211
	;; [unrolled: 2-line block ×13, first 2 shown]
	v_pk_add_f32 v[12:13], v[232:233], v[12:13]
	v_pk_add_f32 v[14:15], v[200:201], v[14:15]
	v_mov_b32_e32 v20, v77
	ds_write2_b64 v77, v[12:13], v[14:15] offset0:12 offset1:13
	v_mov_b32_e32 v109, v107
	v_accvgpr_read_b32 v77, a29
	v_mov_b32_e32 v177, v81
	v_pk_add_f32 v[12:13], v[16:17], v[108:109]
	v_mov_b32_e32 v113, v111
	v_pk_add_f32 v[14:15], v[16:17], v[76:77]
	v_accvgpr_read_b32 v81, a31
	v_pk_add_f32 v[12:13], v[112:113], v[12:13]
	v_mov_b32_e32 v117, v115
	v_pk_add_f32 v[14:15], v[80:81], v[14:15]
	v_accvgpr_read_b32 v85, a33
	;; [unrolled: 4-line block ×5, first 2 shown]
	v_pk_add_f32 v[12:13], v[140:141], v[12:13]
	v_mov_b32_e32 v149, v147
	v_pk_add_f32 v[14:15], v[96:97], v[14:15]
	v_mov_b32_e32 v101, v99
	;; [unrolled: 2-line block ×4, first 2 shown]
	v_pk_add_f32 v[12:13], v[154:155], v[12:13]
	v_pk_add_f32 v[14:15], v[104:105], v[14:15]
	ds_write2_b64 v20, v[12:13], v[14:15] offset0:14 offset1:15
	v_accvgpr_read_b32 v12, a12
	v_accvgpr_read_b32 v13, a13
	v_pk_add_f32 v[12:13], v[16:17], v[12:13]
	v_accvgpr_read_b32 v14, a14
	v_accvgpr_read_b32 v15, a15
	v_pk_add_f32 v[12:13], v[14:15], v[12:13]
	;; [unrolled: 3-line block ×4, first 2 shown]
	v_accvgpr_read_b32 v14, a20
	v_accvgpr_read_b32 v15, a21
	v_mov_b32_e32 v184, v37
	v_pk_add_f32 v[12:13], v[14:15], v[12:13]
	v_accvgpr_read_b32 v37, a23
	v_mov_b32_e32 v185, v41
	v_pk_add_f32 v[12:13], v[36:37], v[12:13]
	v_accvgpr_read_b32 v41, a25
	v_accvgpr_read_b32 v137, a1
	;; [unrolled: 1-line block ×3, first 2 shown]
	v_mov_b32_e32 v83, v59
	v_accvgpr_read_b32 v95, a11
	v_accvgpr_read_b32 v89, a5
	;; [unrolled: 1-line block ×3, first 2 shown]
	v_pk_add_f32 v[12:13], v[40:41], v[12:13]
	v_accvgpr_read_b32 v59, a27
	v_accvgpr_read_b32 v136, a0
	;; [unrolled: 1-line block ×4, first 2 shown]
	v_mov_b32_e32 v186, v98
	v_accvgpr_read_b32 v85, a3
	v_accvgpr_read_b32 v84, a2
	v_accvgpr_read_b32 v88, a4
	v_accvgpr_read_b32 v92, a8
	v_pk_add_f32 v[12:13], v[58:59], v[12:13]
	ds_write_b64 v20, v[12:13] offset:128
.LBB0_13:
	s_or_b64 exec, exec, s[4:5]
	s_waitcnt lgkmcnt(0)
	; wave barrier
	s_waitcnt lgkmcnt(0)
	ds_read2_b64 v[12:15], v236 offset0:34 offset1:51
	ds_read2_b64 v[16:19], v236 offset0:102 offset1:119
	;; [unrolled: 1-line block ×6, first 2 shown]
	v_mov_b32_e32 v36, v1
	s_waitcnt lgkmcnt(4)
	v_pk_mul_f32 v[42:43], v[36:37], v[16:17] op_sel:[0,1] op_sel_hi:[1,0]
	v_pk_mul_f32 v[36:37], v[0:1], v[16:17] op_sel:[0,1] op_sel_hi:[1,0]
	s_waitcnt lgkmcnt(3)
	v_mul_f32_e32 v59, v11, v23
	v_mov_b32_e32 v36, v37
	v_pk_mul_f32 v[40:41], v[0:1], v[16:17]
	v_pk_fma_f32 v[16:17], v[0:1], v[16:17], v[36:37] op_sel:[0,1,0] op_sel_hi:[1,0,1] neg_lo:[0,0,1] neg_hi:[0,0,1]
	v_fmac_f32_e32 v59, v10, v22
	v_mov_b32_e32 v58, v13
	v_pk_mul_f32 v[74:75], v[8:9], v[12:13] op_sel_hi:[1,0]
	v_mul_f32_e32 v17, v9, v14
	v_pk_fma_f32 v[76:77], v[8:9], v[58:59], v[74:75] op_sel:[0,0,1] op_sel_hi:[1,1,0] neg_lo:[0,0,1] neg_hi:[0,0,1]
	v_pk_fma_f32 v[12:13], v[8:9], v[12:13], v[74:75] op_sel:[0,1,1] op_sel_hi:[1,1,0]
	v_fma_f32 v50, v8, v15, -v17
	v_mov_b32_e32 v77, v13
	v_mov_b32_e32 v8, v21
	v_pk_mul_f32 v[12:13], v[10:11], v[20:21] op_sel_hi:[1,0]
	v_mov_b32_e32 v36, v3
	v_pk_fma_f32 v[74:75], v[10:11], v[8:9], v[12:13] op_sel:[0,0,1] op_sel_hi:[1,1,0] neg_lo:[0,0,1] neg_hi:[0,0,1]
	v_pk_fma_f32 v[12:13], v[10:11], v[20:21], v[12:13] op_sel:[0,1,1] op_sel_hi:[1,1,0]
	s_waitcnt lgkmcnt(2)
	v_mov_b32_e32 v8, v25
	v_mov_b32_e32 v75, v13
	v_pk_mul_f32 v[12:13], v[4:5], v[24:25] op_sel_hi:[1,0]
	s_waitcnt lgkmcnt(0)
	v_pk_mul_f32 v[44:45], v[2:3], v[32:33]
	v_pk_fma_f32 v[20:21], v[4:5], v[8:9], v[12:13] op_sel:[0,0,1] op_sel_hi:[1,1,0] neg_lo:[0,0,1] neg_hi:[0,0,1]
	v_pk_fma_f32 v[12:13], v[4:5], v[24:25], v[12:13] op_sel:[0,1,1] op_sel_hi:[1,1,0]
	v_mov_b32_e32 v8, v29
	v_mov_b32_e32 v21, v13
	v_pk_mul_f32 v[12:13], v[6:7], v[28:29] op_sel_hi:[1,0]
	v_pk_mul_f32 v[46:47], v[36:37], v[32:33] op_sel:[0,1] op_sel_hi:[1,0]
	v_pk_mul_f32 v[36:37], v[2:3], v[32:33] op_sel:[0,1] op_sel_hi:[1,0]
	v_pk_fma_f32 v[24:25], v[6:7], v[8:9], v[12:13] op_sel:[0,0,1] op_sel_hi:[1,1,0] neg_lo:[0,0,1] neg_hi:[0,0,1]
	v_pk_fma_f32 v[12:13], v[6:7], v[28:29], v[12:13] op_sel:[0,1,1] op_sel_hi:[1,1,0]
	v_mov_b32_e32 v36, v37
	v_mov_b32_e32 v25, v13
	;; [unrolled: 1-line block ×6, first 2 shown]
	v_pk_fma_f32 v[32:33], v[2:3], v[32:33], v[36:37] op_sel:[0,1,0] op_sel_hi:[1,0,1] neg_lo:[0,0,1] neg_hi:[0,0,1]
	v_mul_f32_e32 v17, v7, v30
	v_pk_add_f32 v[12:13], v[76:77], v[24:25]
	v_pk_add_f32 v[28:29], v[76:77], v[24:25] neg_lo:[0,1] neg_hi:[0,1]
	v_pk_add_f32 v[78:79], v[74:75], v[20:21]
	v_pk_add_f32 v[80:81], v[74:75], v[20:21] neg_lo:[0,1] neg_hi:[0,1]
	v_pk_add_f32 v[24:25], v[44:45], v[46:47]
	v_pk_add_f32 v[20:21], v[40:41], v[42:43]
	v_fma_f32 v68, v6, v31, -v17
	v_mov_b32_e32 v33, v24
	v_mov_b32_e32 v17, v20
	v_pk_add_f32 v[40:41], v[32:33], v[16:17] neg_lo:[0,1] neg_hi:[0,1]
	ds_read2_b64 v[36:39], v236 offset1:17
	v_pk_add_f32 v[74:75], v[40:41], v[80:81]
	v_pk_add_f32 v[42:43], v[80:81], v[28:29] neg_lo:[0,1] neg_hi:[0,1]
	v_pk_add_f32 v[44:45], v[28:29], v[40:41] neg_lo:[0,1] neg_hi:[0,1]
	v_pk_add_f32 v[28:29], v[74:75], v[28:29]
	v_mov_b32_e32 v74, v79
	v_mov_b32_e32 v75, v16
	;; [unrolled: 1-line block ×4, first 2 shown]
	v_pk_add_f32 v[16:17], v[74:75], v[16:17]
	v_pk_add_f32 v[32:33], v[20:21], v[24:25]
	v_mov_b32_e32 v20, v79
	v_mov_b32_e32 v24, v13
	;; [unrolled: 1-line block ×4, first 2 shown]
	s_mov_b32 s14, 0xbeae86e6
	v_pk_add_f32 v[12:13], v[20:21], v[24:25] neg_lo:[0,1] neg_hi:[0,1]
	v_pk_add_f32 v[24:25], v[24:25], v[74:75] neg_lo:[0,1] neg_hi:[0,1]
	v_pk_add_f32 v[16:17], v[16:17], v[32:33]
	s_mov_b32 s18, 0x3f4a47b2
	s_mov_b32 s10, 0x3f3bfb3b
	v_pk_mul_f32 v[46:47], v[44:45], s[14:15] op_sel_hi:[1,0]
	s_waitcnt lgkmcnt(0)
	v_pk_add_f32 v[32:33], v[36:37], v[16:17]
	s_mov_b32 s16, 0x3f955555
	v_pk_mul_f32 v[24:25], v[24:25], s[18:19] op_sel_hi:[1,0]
	v_pk_mul_f32 v[36:37], v[12:13], s[10:11] op_sel_hi:[1,0]
	v_pk_add_f32 v[40:41], v[40:41], v[80:81] neg_lo:[0,1] neg_hi:[0,1]
	s_mov_b32 s20, 0x3f08b237
	v_pk_add_f32 v[20:21], v[74:75], v[20:21] neg_lo:[0,1] neg_hi:[0,1]
	s_mov_b32 s22, 0x3d64c772
	s_mov_b32 s4, 0xbf5ff5aa
	;; [unrolled: 1-line block ×3, first 2 shown]
	v_pk_fma_f32 v[16:17], v[16:17], s[16:17], v[32:33] op_sel_hi:[1,0,1] neg_lo:[1,0,0] neg_hi:[1,0,0]
	v_pk_fma_f32 v[12:13], v[12:13], s[10:11], v[24:25] op_sel_hi:[1,0,1] neg_lo:[1,0,1] neg_hi:[1,0,1]
	;; [unrolled: 1-line block ×3, first 2 shown]
	v_pk_fma_f32 v[20:21], v[20:21], s[22:23], v[24:25] op_sel_hi:[1,0,1]
	v_pk_fma_f32 v[24:25], v[40:41], s[20:21], v[46:47] op_sel_hi:[1,0,1]
	v_pk_mul_f32 v[42:43], v[42:43], s[4:5] op_sel_hi:[1,0]
	v_pk_add_f32 v[12:13], v[12:13], v[16:17]
	v_pk_add_f32 v[36:37], v[36:37], v[16:17]
	v_pk_add_f32 v[16:17], v[20:21], v[16:17]
	v_pk_fma_f32 v[20:21], v[28:29], s[6:7], v[24:25] op_sel_hi:[1,0,1]
	v_pk_fma_f32 v[44:45], v[44:45], s[14:15], v[42:43] op_sel_hi:[1,0,1] neg_lo:[1,0,1] neg_hi:[1,0,1]
	v_pk_fma_f32 v[42:43], v[40:41], s[20:21], v[42:43] op_sel_hi:[1,0,1] neg_lo:[1,0,0] neg_hi:[1,0,0]
	v_pk_add_f32 v[24:25], v[16:17], v[20:21] neg_lo:[0,1] neg_hi:[0,1]
	v_pk_add_f32 v[16:17], v[16:17], v[20:21]
	v_mov_b32_e32 v21, v10
	v_mov_b32_e32 v10, v1
	;; [unrolled: 1-line block ×4, first 2 shown]
	v_pk_mul_f32 v[10:11], v[10:11], v[40:41]
	v_pk_fma_f32 v[44:45], v[28:29], s[6:7], v[44:45] op_sel_hi:[1,0,1]
	v_pk_fma_f32 v[42:43], v[28:29], s[6:7], v[42:43] op_sel_hi:[1,0,1]
	v_mov_b32_e32 v20, v0
	v_mov_b32_e32 v28, v18
	;; [unrolled: 1-line block ×3, first 2 shown]
	v_pk_fma_f32 v[22:23], v[0:1], v[18:19], v[10:11]
	v_mov_b32_e32 v0, v9
	v_mov_b32_e32 v8, v15
	;; [unrolled: 1-line block ×3, first 2 shown]
	v_mul_f32_e32 v67, v5, v27
	v_pk_fma_f32 v[10:11], v[20:21], v[28:29], v[10:11] neg_lo:[0,0,1] neg_hi:[0,0,1]
	v_mov_b32_e32 v20, v14
	v_mov_b32_e32 v21, v19
	v_pk_mul_f32 v[0:1], v[0:1], v[8:9]
	v_fmac_f32_e32 v67, v4, v26
	v_pk_fma_f32 v[8:9], v[48:49], v[20:21], v[0:1]
	v_pk_fma_f32 v[0:1], v[48:49], v[20:21], v[0:1] neg_lo:[0,0,1] neg_hi:[0,0,1]
	v_mov_b32_e32 v15, v4
	v_mov_b32_e32 v4, v3
	v_mov_b32_e32 v20, v35
	v_mov_b32_e32 v21, v26
	v_pk_mul_f32 v[4:5], v[4:5], v[20:21]
	v_mov_b32_e32 v14, v2
	v_mov_b32_e32 v18, v34
	;; [unrolled: 1-line block ×3, first 2 shown]
	v_pk_fma_f32 v[20:21], v[2:3], v[34:35], v[4:5]
	v_mov_b32_e32 v2, v7
	v_mov_b32_e32 v6, v31
	;; [unrolled: 1-line block ×3, first 2 shown]
	v_pk_fma_f32 v[4:5], v[14:15], v[18:19], v[4:5] neg_lo:[0,0,1] neg_hi:[0,0,1]
	v_mov_b32_e32 v14, v30
	v_mov_b32_e32 v15, v35
	v_pk_mul_f32 v[2:3], v[2:3], v[6:7]
	v_mov_b32_e32 v23, v11
	v_pk_fma_f32 v[6:7], v[136:137], v[14:15], v[2:3]
	v_pk_fma_f32 v[2:3], v[136:137], v[14:15], v[2:3] neg_lo:[0,0,1] neg_hi:[0,0,1]
	v_mov_b32_e32 v9, v1
	v_mov_b32_e32 v21, v5
	;; [unrolled: 1-line block ×3, first 2 shown]
	v_add_f32_e32 v71, v50, v68
	v_add_f32_e32 v72, v59, v67
	v_mov_b32_e32 v51, v8
	v_mov_b32_e32 v69, v6
	v_mov_b32_e32 v58, v11
	v_mov_b32_e32 v66, v5
	v_pk_add_f32 v[10:11], v[22:23], v[20:21]
	v_pk_add_f32 v[6:7], v[8:9], v[6:7]
	v_mov_b32_e32 v2, v3
	v_mov_b32_e32 v3, v20
	;; [unrolled: 1-line block ×4, first 2 shown]
	v_pk_add_f32 v[14:15], v[50:51], v[68:69] neg_lo:[0,1] neg_hi:[0,1]
	v_pk_add_f32 v[4:5], v[58:59], v[66:67] neg_lo:[0,1] neg_hi:[0,1]
	;; [unrolled: 1-line block ×3, first 2 shown]
	v_mov_b32_e32 v73, v11
	v_mov_b32_e32 v70, v6
	;; [unrolled: 1-line block ×6, first 2 shown]
	v_pk_add_f32 v[2:3], v[72:73], v[70:71]
	v_pk_add_f32 v[8:9], v[8:9], v[18:19] neg_lo:[0,1] neg_hi:[0,1]
	v_pk_add_f32 v[18:19], v[6:7], v[10:11] neg_lo:[0,1] neg_hi:[0,1]
	v_mov_b32_e32 v22, v0
	v_mov_b32_e32 v23, v15
	;; [unrolled: 1-line block ×5, first 2 shown]
	v_pk_add_f32 v[20:21], v[0:1], v[4:5]
	v_pk_add_f32 v[22:23], v[22:23], v[26:27] neg_lo:[0,1] neg_hi:[0,1]
	v_mov_b32_e32 v26, v14
	v_mov_b32_e32 v1, v5
	v_pk_add_f32 v[2:3], v[10:11], v[2:3]
	s_mov_b32 s23, s18
	s_mov_b32 s21, s14
	v_pk_add_f32 v[0:1], v[26:27], v[0:1] neg_lo:[0,1] neg_hi:[0,1]
	v_pk_add_f32 v[10:11], v[38:39], v[2:3]
	v_pk_mul_f32 v[8:9], v[8:9], s[22:23]
	s_mov_b32 s19, s22
	s_mov_b32 s15, s20
	v_pk_mul_f32 v[22:23], v[22:23], s[20:21]
	v_pk_add_f32 v[6:7], v[20:21], v[14:15]
	v_pk_mul_f32 v[20:21], v[18:19], s[18:19]
	v_pk_mul_f32 v[26:27], v[0:1], s[14:15]
	v_pk_fma_f32 v[2:3], v[2:3], s[16:17], v[10:11] op_sel_hi:[1,0,1] neg_lo:[1,0,0] neg_hi:[1,0,0]
	v_pk_fma_f32 v[18:19], v[18:19], s[18:19], v[8:9]
	v_pk_fma_f32 v[0:1], v[0:1], s[14:15], v[22:23]
	v_pk_add_f32 v[18:19], v[18:19], v[2:3]
	v_pk_fma_f32 v[0:1], v[6:7], s[6:7], v[0:1] op_sel_hi:[1,0,1]
	v_pk_add_f32 v[76:77], v[12:13], v[44:45]
	v_pk_add_f32 v[12:13], v[12:13], v[44:45] neg_lo:[0,1] neg_hi:[0,1]
	v_pk_add_f32 v[44:45], v[36:37], v[42:43] neg_lo:[0,1] neg_hi:[0,1]
	v_pk_add_f32 v[36:37], v[36:37], v[42:43]
	v_pk_add_f32 v[28:29], v[18:19], v[0:1] neg_lo:[0,1] neg_hi:[0,1]
	v_pk_add_f32 v[0:1], v[18:19], v[0:1]
	v_mov_b32_e32 v18, v16
	v_mov_b32_e32 v19, v25
	s_waitcnt lgkmcnt(0)
	; wave barrier
	ds_write2_b64 v236, v[32:33], v[18:19] offset1:17
	v_mov_b32_e32 v19, v13
	v_mov_b32_e32 v31, v37
	;; [unrolled: 1-line block ×4, first 2 shown]
	ds_write2_b64 v236, v[36:37], v[12:13] offset0:68 offset1:85
	v_mov_b32_e32 v25, v17
	v_pk_add_f32 v[12:13], v[72:73], v[70:71] neg_lo:[0,1] neg_hi:[0,1]
	v_pk_add_f32 v[4:5], v[4:5], v[14:15] neg_lo:[0,1] neg_hi:[0,1]
	v_mov_b32_e32 v14, v20
	v_mov_b32_e32 v15, v9
	;; [unrolled: 1-line block ×6, first 2 shown]
	v_pk_fma_f32 v[14:15], v[12:13], s[10:11], v[14:15] op_sel_hi:[1,0,1] neg_lo:[1,0,1] neg_hi:[1,0,1]
	v_pk_fma_f32 v[16:17], v[4:5], s[4:5], v[16:17] op_sel_hi:[1,0,1] neg_lo:[1,0,1] neg_hi:[1,0,1]
	v_pk_fma_f32 v[8:9], v[12:13], s[10:11], v[8:9] op_sel_hi:[1,0,1] neg_lo:[0,0,1] neg_hi:[0,0,1]
	v_pk_fma_f32 v[4:5], v[4:5], s[4:5], v[22:23] op_sel_hi:[1,0,1] neg_lo:[0,0,1] neg_hi:[0,0,1]
	v_mov_b32_e32 v18, v76
	v_mov_b32_e32 v30, v44
	v_pk_add_f32 v[14:15], v[14:15], v[2:3]
	v_pk_fma_f32 v[16:17], v[6:7], s[6:7], v[16:17] op_sel_hi:[1,0,1]
	v_pk_add_f32 v[2:3], v[8:9], v[2:3]
	v_pk_fma_f32 v[4:5], v[6:7], s[6:7], v[4:5] op_sel_hi:[1,0,1]
	ds_write2_b64 v236, v[18:19], v[30:31] offset0:34 offset1:51
	v_pk_add_f32 v[18:19], v[14:15], v[16:17] neg_lo:[0,1] neg_hi:[0,1]
	v_pk_add_f32 v[14:15], v[14:15], v[16:17]
	v_pk_add_f32 v[6:7], v[2:3], v[4:5]
	v_pk_add_f32 v[2:3], v[2:3], v[4:5] neg_lo:[0,1] neg_hi:[0,1]
	ds_write2_b64 v236, v[24:25], v[10:11] offset0:102 offset1:119
	v_mov_b32_e32 v10, v0
	v_mov_b32_e32 v11, v29
	;; [unrolled: 1-line block ×9, first 2 shown]
	ds_write2_b64 v236, v[10:11], v[16:17] offset0:136 offset1:153
	ds_write2_b64 v236, v[4:5], v[6:7] offset0:170 offset1:187
	ds_write2_b64 v236, v[18:19], v[28:29] offset0:204 offset1:221
	s_waitcnt lgkmcnt(0)
	; wave barrier
	s_waitcnt lgkmcnt(0)
	ds_read2_b64 v[0:3], v236 offset0:102 offset1:119
	ds_read2_b64 v[4:7], v236 offset1:17
	s_waitcnt lgkmcnt(1)
	v_pk_mul_f32 v[8:9], v[62:63], v[2:3] op_sel:[1,0]
	s_nop 0
	v_pk_fma_f32 v[12:13], v[62:63], v[2:3], v[8:9] op_sel:[0,0,1] op_sel_hi:[1,1,0]
	v_pk_fma_f32 v[2:3], v[62:63], v[2:3], v[8:9] op_sel:[0,0,1] op_sel_hi:[0,1,0] neg_lo:[0,0,1] neg_hi:[0,0,1]
	ds_read2_b64 v[8:11], v236 offset0:136 offset1:153
	v_mov_b32_e32 v13, v3
	s_waitcnt lgkmcnt(1)
	v_pk_add_f32 v[16:17], v[4:5], v[12:13] neg_lo:[0,1] neg_hi:[0,1]
	ds_read2_b64 v[12:15], v236 offset0:170 offset1:187
	v_pk_fma_f32 v[18:19], v[4:5], 2.0, v[16:17] op_sel_hi:[1,0,1] neg_lo:[0,0,1] neg_hi:[0,0,1]
	ds_read2_b64 v[2:5], v236 offset0:34 offset1:51
	s_waitcnt lgkmcnt(2)
	v_pk_mul_f32 v[20:21], v[64:65], v[10:11]
	s_waitcnt lgkmcnt(1)
	v_pk_mul_f32 v[28:29], v[54:55], v[14:15] op_sel:[1,0]
	v_pk_fma_f32 v[22:23], v[94:95], v[10:11], v[20:21] op_sel:[0,0,1] op_sel_hi:[1,1,0]
	v_pk_fma_f32 v[10:11], v[94:95], v[10:11], v[20:21] op_sel:[0,0,1] op_sel_hi:[1,1,0] neg_lo:[0,0,1] neg_hi:[0,0,1]
	v_pk_fma_f32 v[30:31], v[54:55], v[14:15], v[28:29] op_sel:[0,0,1] op_sel_hi:[1,1,0]
	v_mov_b32_e32 v23, v11
	s_waitcnt lgkmcnt(0)
	v_pk_add_f32 v[20:21], v[2:3], v[22:23] neg_lo:[0,1] neg_hi:[0,1]
	v_pk_fma_f32 v[14:15], v[54:55], v[14:15], v[28:29] op_sel:[0,0,1] op_sel_hi:[0,1,0] neg_lo:[0,0,1] neg_hi:[0,0,1]
	v_pk_fma_f32 v[22:23], v[2:3], 2.0, v[20:21] op_sel_hi:[1,0,1] neg_lo:[0,0,1] neg_hi:[0,0,1]
	v_pk_mul_f32 v[2:3], v[60:61], v[12:13]
	v_mov_b32_e32 v31, v15
	v_pk_fma_f32 v[10:11], v[92:93], v[12:13], v[2:3] op_sel:[0,0,1] op_sel_hi:[1,1,0]
	v_pk_fma_f32 v[2:3], v[92:93], v[12:13], v[2:3] op_sel:[0,0,1] op_sel_hi:[1,1,0] neg_lo:[0,0,1] neg_hi:[0,0,1]
	s_nop 0
	v_mov_b32_e32 v11, v3
	v_pk_add_f32 v[24:25], v[4:5], v[10:11] neg_lo:[0,1] neg_hi:[0,1]
	ds_read2_b64 v[10:13], v236 offset0:204 offset1:221
	v_pk_fma_f32 v[26:27], v[4:5], 2.0, v[24:25] op_sel_hi:[1,0,1] neg_lo:[0,0,1] neg_hi:[0,0,1]
	ds_read2_b64 v[2:5], v236 offset0:68 offset1:85
	s_waitcnt lgkmcnt(1)
	v_pk_mul_f32 v[28:29], v[56:57], v[10:11]
	s_waitcnt lgkmcnt(0)
	v_pk_add_f32 v[14:15], v[2:3], v[30:31] neg_lo:[0,1] neg_hi:[0,1]
	v_pk_fma_f32 v[30:31], v[90:91], v[10:11], v[28:29] op_sel:[0,0,1] op_sel_hi:[1,1,0]
	v_pk_fma_f32 v[10:11], v[90:91], v[10:11], v[28:29] op_sel:[0,0,1] op_sel_hi:[1,1,0] neg_lo:[0,0,1] neg_hi:[0,0,1]
	v_pk_mul_f32 v[28:29], v[52:53], v[12:13]
	v_mov_b32_e32 v31, v11
	v_pk_add_f32 v[10:11], v[4:5], v[30:31] neg_lo:[0,1] neg_hi:[0,1]
	v_pk_fma_f32 v[30:31], v[88:89], v[12:13], v[28:29] op_sel:[0,0,1] op_sel_hi:[1,1,0]
	v_pk_fma_f32 v[12:13], v[88:89], v[12:13], v[28:29] op_sel:[0,0,1] op_sel_hi:[1,1,0] neg_lo:[0,0,1] neg_hi:[0,0,1]
	v_pk_mul_f32 v[28:29], v[208:209], v[8:9] op_sel:[1,0]
	v_mov_b32_e32 v31, v13
	v_pk_add_f32 v[12:13], v[0:1], v[30:31] neg_lo:[0,1] neg_hi:[0,1]
	v_pk_fma_f32 v[30:31], v[208:209], v[8:9], v[28:29] op_sel:[0,0,1] op_sel_hi:[1,1,0]
	v_pk_fma_f32 v[8:9], v[208:209], v[8:9], v[28:29] op_sel:[0,0,1] op_sel_hi:[0,1,0] neg_lo:[0,0,1] neg_hi:[0,0,1]
	v_mov_b32_e32 v31, v9
	v_pk_add_f32 v[8:9], v[6:7], v[30:31] neg_lo:[0,1] neg_hi:[0,1]
	v_pk_fma_f32 v[2:3], v[2:3], 2.0, v[14:15] op_sel_hi:[1,0,1] neg_lo:[0,0,1] neg_hi:[0,0,1]
	v_pk_fma_f32 v[6:7], v[6:7], 2.0, v[8:9] op_sel_hi:[1,0,1] neg_lo:[0,0,1] neg_hi:[0,0,1]
	;; [unrolled: 1-line block ×4, first 2 shown]
	ds_write2_b64 v237, v[18:19], v[6:7] offset1:17
	ds_write2_b64 v237, v[16:17], v[8:9] offset0:119 offset1:136
	ds_write_b64 v237, v[22:23] offset:272
	ds_write_b64 v86, v[20:21] offset:952
	;; [unrolled: 1-line block ×10, first 2 shown]
	s_waitcnt lgkmcnt(0)
	; wave barrier
	s_waitcnt lgkmcnt(0)
	s_and_b64 exec, exec, vcc
	s_cbranch_execz .LBB0_15
; %bb.14:
	global_load_dwordx2 v[2:3], v184, s[8:9]
	ds_read_b64 v[6:7], v237
	v_mad_u64_u32 v[4:5], s[4:5], s2, v186, 0
	v_mov_b32_e32 v10, v5
	v_mad_u64_u32 v[10:11], s[2:3], s3, v186, v[10:11]
	v_mov_b32_e32 v0, s12
	v_mov_b32_e32 v1, s13
	;; [unrolled: 1-line block ×3, first 2 shown]
	v_mad_u64_u32 v[8:9], s[6:7], s0, v177, 0
	v_lshl_add_u64 v[0:1], v[4:5], 3, v[0:1]
	s_mov_b32 s4, 0x1135c811
	v_mov_b32_e32 v12, v9
	s_mov_b32 s5, 0x3f7135c8
	v_mad_u64_u32 v[12:13], s[2:3], s1, v177, v[12:13]
	v_mov_b32_e32 v9, v12
	v_lshl_add_u64 v[8:9], v[8:9], 3, v[0:1]
	v_lshl_add_u32 v12, v185, 3, v184
	v_mov_b32_e32 v13, 0x70
	s_mul_i32 s2, s1, 0x70
	v_or_b32_e32 v11, 0x70, v177
	s_mul_i32 s3, s1, 0xe0
	s_waitcnt vmcnt(0) lgkmcnt(0)
	v_mul_f32_e32 v4, v7, v3
	v_mul_f32_e32 v3, v6, v3
	v_fmac_f32_e32 v4, v6, v2
	v_fma_f32 v5, v2, v7, -v3
	v_cvt_f64_f32_e32 v[2:3], v4
	v_cvt_f64_f32_e32 v[4:5], v5
	v_mul_f64 v[2:3], v[2:3], s[4:5]
	v_mul_f64 v[4:5], v[4:5], s[4:5]
	v_cvt_f32_f64_e32 v2, v[2:3]
	v_cvt_f32_f64_e32 v3, v[4:5]
	global_store_dwordx2 v[8:9], v[2:3], off
	global_load_dwordx2 v[6:7], v184, s[8:9] offset:112
	ds_read2_b64 v[2:5], v12 offset0:14 offset1:28
	v_mad_u64_u32 v[8:9], s[6:7], s0, v13, v[8:9]
	v_add_u32_e32 v9, s2, v9
	s_waitcnt vmcnt(0) lgkmcnt(0)
	v_mul_f32_e32 v10, v3, v7
	v_mul_f32_e32 v7, v2, v7
	v_fmac_f32_e32 v10, v2, v6
	v_fma_f32 v6, v6, v3, -v7
	v_cvt_f64_f32_e32 v[2:3], v10
	v_cvt_f64_f32_e32 v[6:7], v6
	v_mul_f64 v[2:3], v[2:3], s[4:5]
	v_mul_f64 v[6:7], v[6:7], s[4:5]
	v_cvt_f32_f64_e32 v2, v[2:3]
	v_cvt_f32_f64_e32 v3, v[6:7]
	global_store_dwordx2 v[8:9], v[2:3], off
	global_load_dwordx2 v[2:3], v184, s[8:9] offset:224
	v_mad_u64_u32 v[6:7], s[6:7], s0, v13, v[8:9]
	v_add_u32_e32 v7, s2, v7
	s_waitcnt vmcnt(0)
	v_mul_f32_e32 v8, v5, v3
	v_mul_f32_e32 v3, v4, v3
	v_fmac_f32_e32 v8, v4, v2
	v_fma_f32 v4, v2, v5, -v3
	v_cvt_f64_f32_e32 v[2:3], v8
	v_cvt_f64_f32_e32 v[4:5], v4
	v_mul_f64 v[2:3], v[2:3], s[4:5]
	v_mul_f64 v[4:5], v[4:5], s[4:5]
	v_cvt_f32_f64_e32 v2, v[2:3]
	v_cvt_f32_f64_e32 v3, v[4:5]
	global_store_dwordx2 v[6:7], v[2:3], off
	global_load_dwordx2 v[8:9], v184, s[8:9] offset:336
	ds_read2_b64 v[2:5], v12 offset0:42 offset1:56
	v_mad_u64_u32 v[6:7], s[6:7], s0, v13, v[6:7]
	v_add_u32_e32 v7, s2, v7
	s_waitcnt vmcnt(0) lgkmcnt(0)
	v_mul_f32_e32 v10, v3, v9
	v_mul_f32_e32 v9, v2, v9
	v_fmac_f32_e32 v10, v2, v8
	v_fma_f32 v8, v8, v3, -v9
	v_cvt_f64_f32_e32 v[2:3], v10
	v_cvt_f64_f32_e32 v[8:9], v8
	v_mul_f64 v[2:3], v[2:3], s[4:5]
	v_mul_f64 v[8:9], v[8:9], s[4:5]
	v_cvt_f32_f64_e32 v2, v[2:3]
	v_cvt_f32_f64_e32 v3, v[8:9]
	global_store_dwordx2 v[6:7], v[2:3], off
	global_load_dwordx2 v[2:3], v184, s[8:9] offset:448
	v_mad_u64_u32 v[6:7], s[6:7], s0, v13, v[6:7]
	v_add_u32_e32 v7, s2, v7
	s_waitcnt vmcnt(0)
	;; [unrolled: 31-line block ×3, first 2 shown]
	v_mul_f32_e32 v8, v5, v3
	v_mul_f32_e32 v3, v4, v3
	v_fmac_f32_e32 v8, v4, v2
	v_fma_f32 v4, v2, v5, -v3
	v_cvt_f64_f32_e32 v[2:3], v8
	v_cvt_f64_f32_e32 v[4:5], v4
	v_mul_f64 v[2:3], v[2:3], s[4:5]
	v_mul_f64 v[4:5], v[4:5], s[4:5]
	v_cvt_f32_f64_e32 v2, v[2:3]
	v_cvt_f32_f64_e32 v3, v[4:5]
	global_store_dwordx2 v[6:7], v[2:3], off
	global_load_dwordx2 v[8:9], v184, s[8:9] offset:784
	ds_read2_b64 v[2:5], v12 offset0:98 offset1:112
	v_mad_u64_u32 v[6:7], s[6:7], s0, v13, v[6:7]
	v_add_u32_e32 v7, s2, v7
	s_waitcnt vmcnt(0) lgkmcnt(0)
	v_mul_f32_e32 v10, v3, v9
	v_mul_f32_e32 v9, v2, v9
	v_fmac_f32_e32 v10, v2, v8
	v_fma_f32 v8, v8, v3, -v9
	v_cvt_f64_f32_e32 v[2:3], v10
	v_cvt_f64_f32_e32 v[8:9], v8
	v_mul_f64 v[2:3], v[2:3], s[4:5]
	v_mul_f64 v[8:9], v[8:9], s[4:5]
	v_cvt_f32_f64_e32 v2, v[2:3]
	v_cvt_f32_f64_e32 v3, v[8:9]
	global_store_dwordx2 v[6:7], v[2:3], off
	global_load_dwordx2 v[2:3], v184, s[8:9] offset:896
	v_mad_u64_u32 v[8:9], s[6:7], s0, v11, 0
	v_mov_b32_e32 v10, v9
	v_mad_u64_u32 v[10:11], s[6:7], s1, v11, v[10:11]
	v_mov_b32_e32 v9, v10
	v_lshl_add_u64 v[8:9], v[8:9], 3, v[0:1]
	s_waitcnt vmcnt(0)
	v_mul_f32_e32 v10, v5, v3
	v_mul_f32_e32 v3, v4, v3
	v_fmac_f32_e32 v10, v4, v2
	v_fma_f32 v4, v2, v5, -v3
	v_cvt_f64_f32_e32 v[2:3], v10
	v_cvt_f64_f32_e32 v[4:5], v4
	v_mul_f64 v[2:3], v[2:3], s[4:5]
	v_mul_f64 v[4:5], v[4:5], s[4:5]
	v_cvt_f32_f64_e32 v2, v[2:3]
	v_cvt_f32_f64_e32 v3, v[4:5]
	global_store_dwordx2 v[8:9], v[2:3], off
	global_load_dwordx2 v[8:9], v184, s[8:9] offset:1008
	ds_read2_b64 v[2:5], v12 offset0:126 offset1:140
	v_mov_b32_e32 v10, 0xe0
	v_mad_u64_u32 v[6:7], s[6:7], s0, v10, v[6:7]
	v_add_u32_e32 v7, s3, v7
	s_waitcnt vmcnt(0) lgkmcnt(0)
	v_mul_f32_e32 v10, v3, v9
	v_mul_f32_e32 v9, v2, v9
	v_fmac_f32_e32 v10, v2, v8
	v_fma_f32 v8, v8, v3, -v9
	v_cvt_f64_f32_e32 v[2:3], v10
	v_cvt_f64_f32_e32 v[8:9], v8
	v_mul_f64 v[2:3], v[2:3], s[4:5]
	v_mul_f64 v[8:9], v[8:9], s[4:5]
	v_cvt_f32_f64_e32 v2, v[2:3]
	v_cvt_f32_f64_e32 v3, v[8:9]
	global_store_dwordx2 v[6:7], v[2:3], off
	global_load_dwordx2 v[2:3], v184, s[8:9] offset:1120
	v_mad_u64_u32 v[6:7], s[6:7], s0, v13, v[6:7]
	v_add_u32_e32 v7, s2, v7
	s_waitcnt vmcnt(0)
	v_mul_f32_e32 v8, v5, v3
	v_mul_f32_e32 v3, v4, v3
	v_fmac_f32_e32 v8, v4, v2
	v_fma_f32 v4, v2, v5, -v3
	v_cvt_f64_f32_e32 v[2:3], v8
	v_cvt_f64_f32_e32 v[4:5], v4
	v_mul_f64 v[2:3], v[2:3], s[4:5]
	v_mul_f64 v[4:5], v[4:5], s[4:5]
	v_cvt_f32_f64_e32 v2, v[2:3]
	v_cvt_f32_f64_e32 v3, v[4:5]
	global_store_dwordx2 v[6:7], v[2:3], off
	global_load_dwordx2 v[8:9], v184, s[8:9] offset:1232
	ds_read2_b64 v[2:5], v12 offset0:154 offset1:168
	v_mad_u64_u32 v[6:7], s[6:7], s0, v13, v[6:7]
	v_add_u32_e32 v7, s2, v7
	s_waitcnt vmcnt(0) lgkmcnt(0)
	v_mul_f32_e32 v10, v3, v9
	v_mul_f32_e32 v9, v2, v9
	v_fmac_f32_e32 v10, v2, v8
	v_fma_f32 v8, v8, v3, -v9
	v_cvt_f64_f32_e32 v[2:3], v10
	v_cvt_f64_f32_e32 v[8:9], v8
	v_mul_f64 v[2:3], v[2:3], s[4:5]
	v_mul_f64 v[8:9], v[8:9], s[4:5]
	v_cvt_f32_f64_e32 v2, v[2:3]
	v_cvt_f32_f64_e32 v3, v[8:9]
	global_store_dwordx2 v[6:7], v[2:3], off
	global_load_dwordx2 v[2:3], v184, s[8:9] offset:1344
	v_mad_u64_u32 v[6:7], s[6:7], s0, v13, v[6:7]
	v_add_u32_e32 v7, s2, v7
	s_waitcnt vmcnt(0)
	v_mul_f32_e32 v8, v5, v3
	v_mul_f32_e32 v3, v4, v3
	v_fmac_f32_e32 v8, v4, v2
	v_fma_f32 v4, v2, v5, -v3
	v_cvt_f64_f32_e32 v[2:3], v8
	v_cvt_f64_f32_e32 v[4:5], v4
	v_mul_f64 v[2:3], v[2:3], s[4:5]
	v_mul_f64 v[4:5], v[4:5], s[4:5]
	v_cvt_f32_f64_e32 v2, v[2:3]
	v_cvt_f32_f64_e32 v3, v[4:5]
	global_store_dwordx2 v[6:7], v[2:3], off
	global_load_dwordx2 v[8:9], v184, s[8:9] offset:1456
	ds_read2_b64 v[2:5], v12 offset0:182 offset1:196
	;; [unrolled: 31-line block ×3, first 2 shown]
	v_mad_u64_u32 v[6:7], s[6:7], s0, v13, v[6:7]
	v_add_u32_e32 v7, s2, v7
	s_waitcnt vmcnt(0) lgkmcnt(0)
	v_mul_f32_e32 v10, v3, v9
	v_mul_f32_e32 v9, v2, v9
	v_fmac_f32_e32 v10, v2, v8
	v_fma_f32 v8, v8, v3, -v9
	v_cvt_f64_f32_e32 v[2:3], v10
	v_cvt_f64_f32_e32 v[8:9], v8
	v_mul_f64 v[2:3], v[2:3], s[4:5]
	v_mul_f64 v[8:9], v[8:9], s[4:5]
	v_cvt_f32_f64_e32 v2, v[2:3]
	v_cvt_f32_f64_e32 v3, v[8:9]
	global_store_dwordx2 v[6:7], v[2:3], off
	global_load_dwordx2 v[2:3], v184, s[8:9] offset:1792
	v_or_b32_e32 v9, 0xe0, v177
	v_mad_u64_u32 v[6:7], s[2:3], s0, v9, 0
	v_mov_b32_e32 v8, v7
	v_mad_u64_u32 v[8:9], s[0:1], s1, v9, v[8:9]
	v_mov_b32_e32 v7, v8
	v_lshl_add_u64 v[0:1], v[6:7], 3, v[0:1]
	s_waitcnt vmcnt(0)
	v_mul_f32_e32 v8, v5, v3
	v_mul_f32_e32 v3, v4, v3
	v_fmac_f32_e32 v8, v4, v2
	v_fma_f32 v4, v2, v5, -v3
	v_cvt_f64_f32_e32 v[2:3], v8
	v_cvt_f64_f32_e32 v[4:5], v4
	v_mul_f64 v[2:3], v[2:3], s[4:5]
	v_mul_f64 v[4:5], v[4:5], s[4:5]
	v_cvt_f32_f64_e32 v2, v[2:3]
	v_cvt_f32_f64_e32 v3, v[4:5]
	global_store_dwordx2 v[0:1], v[2:3], off
.LBB0_15:
	s_endpgm
	.section	.rodata,"a",@progbits
	.p2align	6, 0x0
	.amdhsa_kernel bluestein_single_fwd_len238_dim1_sp_op_CI_CI
		.amdhsa_group_segment_fixed_size 5712
		.amdhsa_private_segment_fixed_size 0
		.amdhsa_kernarg_size 104
		.amdhsa_user_sgpr_count 2
		.amdhsa_user_sgpr_dispatch_ptr 0
		.amdhsa_user_sgpr_queue_ptr 0
		.amdhsa_user_sgpr_kernarg_segment_ptr 1
		.amdhsa_user_sgpr_dispatch_id 0
		.amdhsa_user_sgpr_kernarg_preload_length 0
		.amdhsa_user_sgpr_kernarg_preload_offset 0
		.amdhsa_user_sgpr_private_segment_size 0
		.amdhsa_uses_dynamic_stack 0
		.amdhsa_enable_private_segment 0
		.amdhsa_system_sgpr_workgroup_id_x 1
		.amdhsa_system_sgpr_workgroup_id_y 0
		.amdhsa_system_sgpr_workgroup_id_z 0
		.amdhsa_system_sgpr_workgroup_info 0
		.amdhsa_system_vgpr_workitem_id 0
		.amdhsa_next_free_vgpr 296
		.amdhsa_next_free_sgpr 56
		.amdhsa_accum_offset 256
		.amdhsa_reserve_vcc 1
		.amdhsa_float_round_mode_32 0
		.amdhsa_float_round_mode_16_64 0
		.amdhsa_float_denorm_mode_32 3
		.amdhsa_float_denorm_mode_16_64 3
		.amdhsa_dx10_clamp 1
		.amdhsa_ieee_mode 1
		.amdhsa_fp16_overflow 0
		.amdhsa_tg_split 0
		.amdhsa_exception_fp_ieee_invalid_op 0
		.amdhsa_exception_fp_denorm_src 0
		.amdhsa_exception_fp_ieee_div_zero 0
		.amdhsa_exception_fp_ieee_overflow 0
		.amdhsa_exception_fp_ieee_underflow 0
		.amdhsa_exception_fp_ieee_inexact 0
		.amdhsa_exception_int_div_zero 0
	.end_amdhsa_kernel
	.text
.Lfunc_end0:
	.size	bluestein_single_fwd_len238_dim1_sp_op_CI_CI, .Lfunc_end0-bluestein_single_fwd_len238_dim1_sp_op_CI_CI
                                        ; -- End function
	.section	.AMDGPU.csdata,"",@progbits
; Kernel info:
; codeLenInByte = 16964
; NumSgprs: 62
; NumVgprs: 256
; NumAgprs: 40
; TotalNumVgprs: 296
; ScratchSize: 0
; MemoryBound: 0
; FloatMode: 240
; IeeeMode: 1
; LDSByteSize: 5712 bytes/workgroup (compile time only)
; SGPRBlocks: 7
; VGPRBlocks: 36
; NumSGPRsForWavesPerEU: 62
; NumVGPRsForWavesPerEU: 296
; AccumOffset: 256
; Occupancy: 1
; WaveLimiterHint : 1
; COMPUTE_PGM_RSRC2:SCRATCH_EN: 0
; COMPUTE_PGM_RSRC2:USER_SGPR: 2
; COMPUTE_PGM_RSRC2:TRAP_HANDLER: 0
; COMPUTE_PGM_RSRC2:TGID_X_EN: 1
; COMPUTE_PGM_RSRC2:TGID_Y_EN: 0
; COMPUTE_PGM_RSRC2:TGID_Z_EN: 0
; COMPUTE_PGM_RSRC2:TIDIG_COMP_CNT: 0
; COMPUTE_PGM_RSRC3_GFX90A:ACCUM_OFFSET: 63
; COMPUTE_PGM_RSRC3_GFX90A:TG_SPLIT: 0
	.text
	.p2alignl 6, 3212836864
	.fill 256, 4, 3212836864
	.type	__hip_cuid_d3c51f9d052430a2,@object ; @__hip_cuid_d3c51f9d052430a2
	.section	.bss,"aw",@nobits
	.globl	__hip_cuid_d3c51f9d052430a2
__hip_cuid_d3c51f9d052430a2:
	.byte	0                               ; 0x0
	.size	__hip_cuid_d3c51f9d052430a2, 1

	.ident	"AMD clang version 19.0.0git (https://github.com/RadeonOpenCompute/llvm-project roc-6.4.0 25133 c7fe45cf4b819c5991fe208aaa96edf142730f1d)"
	.section	".note.GNU-stack","",@progbits
	.addrsig
	.addrsig_sym __hip_cuid_d3c51f9d052430a2
	.amdgpu_metadata
---
amdhsa.kernels:
  - .agpr_count:     40
    .args:
      - .actual_access:  read_only
        .address_space:  global
        .offset:         0
        .size:           8
        .value_kind:     global_buffer
      - .actual_access:  read_only
        .address_space:  global
        .offset:         8
        .size:           8
        .value_kind:     global_buffer
      - .actual_access:  read_only
        .address_space:  global
        .offset:         16
        .size:           8
        .value_kind:     global_buffer
      - .actual_access:  read_only
        .address_space:  global
        .offset:         24
        .size:           8
        .value_kind:     global_buffer
      - .actual_access:  read_only
        .address_space:  global
        .offset:         32
        .size:           8
        .value_kind:     global_buffer
      - .offset:         40
        .size:           8
        .value_kind:     by_value
      - .address_space:  global
        .offset:         48
        .size:           8
        .value_kind:     global_buffer
      - .address_space:  global
        .offset:         56
        .size:           8
        .value_kind:     global_buffer
      - .address_space:  global
        .offset:         64
        .size:           8
        .value_kind:     global_buffer
      - .address_space:  global
        .offset:         72
        .size:           8
        .value_kind:     global_buffer
      - .offset:         80
        .size:           4
        .value_kind:     by_value
      - .address_space:  global
        .offset:         88
        .size:           8
        .value_kind:     global_buffer
      - .address_space:  global
        .offset:         96
        .size:           8
        .value_kind:     global_buffer
    .group_segment_fixed_size: 5712
    .kernarg_segment_align: 8
    .kernarg_segment_size: 104
    .language:       OpenCL C
    .language_version:
      - 2
      - 0
    .max_flat_workgroup_size: 51
    .name:           bluestein_single_fwd_len238_dim1_sp_op_CI_CI
    .private_segment_fixed_size: 0
    .sgpr_count:     62
    .sgpr_spill_count: 0
    .symbol:         bluestein_single_fwd_len238_dim1_sp_op_CI_CI.kd
    .uniform_work_group_size: 1
    .uses_dynamic_stack: false
    .vgpr_count:     296
    .vgpr_spill_count: 0
    .wavefront_size: 64
amdhsa.target:   amdgcn-amd-amdhsa--gfx950
amdhsa.version:
  - 1
  - 2
...

	.end_amdgpu_metadata
